;; amdgpu-corpus repo=ROCm/rocFFT kind=compiled arch=gfx1201 opt=O3
	.text
	.amdgcn_target "amdgcn-amd-amdhsa--gfx1201"
	.amdhsa_code_object_version 6
	.protected	fft_rtc_fwd_len1764_factors_2_2_3_3_7_7_wgs_126_tpt_126_halfLds_dp_op_CI_CI_unitstride_sbrr_dirReg ; -- Begin function fft_rtc_fwd_len1764_factors_2_2_3_3_7_7_wgs_126_tpt_126_halfLds_dp_op_CI_CI_unitstride_sbrr_dirReg
	.globl	fft_rtc_fwd_len1764_factors_2_2_3_3_7_7_wgs_126_tpt_126_halfLds_dp_op_CI_CI_unitstride_sbrr_dirReg
	.p2align	8
	.type	fft_rtc_fwd_len1764_factors_2_2_3_3_7_7_wgs_126_tpt_126_halfLds_dp_op_CI_CI_unitstride_sbrr_dirReg,@function
fft_rtc_fwd_len1764_factors_2_2_3_3_7_7_wgs_126_tpt_126_halfLds_dp_op_CI_CI_unitstride_sbrr_dirReg: ; @fft_rtc_fwd_len1764_factors_2_2_3_3_7_7_wgs_126_tpt_126_halfLds_dp_op_CI_CI_unitstride_sbrr_dirReg
; %bb.0:
	s_clause 0x2
	s_load_b128 s[8:11], s[0:1], 0x0
	s_load_b128 s[4:7], s[0:1], 0x58
	;; [unrolled: 1-line block ×3, first 2 shown]
	v_mul_u32_u24_e32 v1, 0x209, v0
	v_mov_b32_e32 v4, 0
	v_mov_b32_e32 v5, 0
	s_delay_alu instid0(VALU_DEP_3) | instskip(NEXT) | instid1(VALU_DEP_1)
	v_lshrrev_b32_e32 v2, 16, v1
	v_dual_mov_b32 v1, 0 :: v_dual_add_nc_u32 v6, ttmp9, v2
	s_delay_alu instid0(VALU_DEP_1) | instskip(SKIP_2) | instid1(VALU_DEP_1)
	v_mov_b32_e32 v7, v1
	s_wait_kmcnt 0x0
	v_cmp_lt_u64_e64 s2, s[10:11], 2
	s_and_b32 vcc_lo, exec_lo, s2
	s_cbranch_vccnz .LBB0_8
; %bb.1:
	s_load_b64 s[2:3], s[0:1], 0x10
	v_mov_b32_e32 v4, 0
	v_mov_b32_e32 v5, 0
	s_add_nc_u64 s[16:17], s[14:15], 8
	s_add_nc_u64 s[18:19], s[12:13], 8
	s_mov_b64 s[20:21], 1
	s_delay_alu instid0(VALU_DEP_1)
	v_dual_mov_b32 v73, v5 :: v_dual_mov_b32 v72, v4
	s_wait_kmcnt 0x0
	s_add_nc_u64 s[22:23], s[2:3], 8
	s_mov_b32 s3, 0
.LBB0_2:                                ; =>This Inner Loop Header: Depth=1
	s_load_b64 s[24:25], s[22:23], 0x0
                                        ; implicit-def: $vgpr74_vgpr75
	s_mov_b32 s2, exec_lo
	s_wait_kmcnt 0x0
	v_or_b32_e32 v2, s25, v7
	s_delay_alu instid0(VALU_DEP_1)
	v_cmpx_ne_u64_e32 0, v[1:2]
	s_wait_alu 0xfffe
	s_xor_b32 s26, exec_lo, s2
	s_cbranch_execz .LBB0_4
; %bb.3:                                ;   in Loop: Header=BB0_2 Depth=1
	s_cvt_f32_u32 s2, s24
	s_cvt_f32_u32 s27, s25
	s_sub_nc_u64 s[30:31], 0, s[24:25]
	s_wait_alu 0xfffe
	s_delay_alu instid0(SALU_CYCLE_1) | instskip(SKIP_1) | instid1(SALU_CYCLE_2)
	s_fmamk_f32 s2, s27, 0x4f800000, s2
	s_wait_alu 0xfffe
	v_s_rcp_f32 s2, s2
	s_delay_alu instid0(TRANS32_DEP_1) | instskip(SKIP_1) | instid1(SALU_CYCLE_2)
	s_mul_f32 s2, s2, 0x5f7ffffc
	s_wait_alu 0xfffe
	s_mul_f32 s27, s2, 0x2f800000
	s_wait_alu 0xfffe
	s_delay_alu instid0(SALU_CYCLE_2) | instskip(SKIP_1) | instid1(SALU_CYCLE_2)
	s_trunc_f32 s27, s27
	s_wait_alu 0xfffe
	s_fmamk_f32 s2, s27, 0xcf800000, s2
	s_cvt_u32_f32 s29, s27
	s_wait_alu 0xfffe
	s_delay_alu instid0(SALU_CYCLE_1) | instskip(SKIP_1) | instid1(SALU_CYCLE_2)
	s_cvt_u32_f32 s28, s2
	s_wait_alu 0xfffe
	s_mul_u64 s[34:35], s[30:31], s[28:29]
	s_wait_alu 0xfffe
	s_mul_hi_u32 s37, s28, s35
	s_mul_i32 s36, s28, s35
	s_mul_hi_u32 s2, s28, s34
	s_mul_i32 s33, s29, s34
	s_wait_alu 0xfffe
	s_add_nc_u64 s[36:37], s[2:3], s[36:37]
	s_mul_hi_u32 s27, s29, s34
	s_mul_hi_u32 s38, s29, s35
	s_add_co_u32 s2, s36, s33
	s_wait_alu 0xfffe
	s_add_co_ci_u32 s2, s37, s27
	s_mul_i32 s34, s29, s35
	s_add_co_ci_u32 s35, s38, 0
	s_wait_alu 0xfffe
	s_add_nc_u64 s[34:35], s[2:3], s[34:35]
	s_wait_alu 0xfffe
	v_add_co_u32 v2, s2, s28, s34
	s_delay_alu instid0(VALU_DEP_1) | instskip(SKIP_1) | instid1(VALU_DEP_1)
	s_cmp_lg_u32 s2, 0
	s_add_co_ci_u32 s29, s29, s35
	v_readfirstlane_b32 s28, v2
	s_wait_alu 0xfffe
	s_delay_alu instid0(VALU_DEP_1)
	s_mul_u64 s[30:31], s[30:31], s[28:29]
	s_wait_alu 0xfffe
	s_mul_hi_u32 s35, s28, s31
	s_mul_i32 s34, s28, s31
	s_mul_hi_u32 s2, s28, s30
	s_mul_i32 s33, s29, s30
	s_wait_alu 0xfffe
	s_add_nc_u64 s[34:35], s[2:3], s[34:35]
	s_mul_hi_u32 s27, s29, s30
	s_mul_hi_u32 s28, s29, s31
	s_wait_alu 0xfffe
	s_add_co_u32 s2, s34, s33
	s_add_co_ci_u32 s2, s35, s27
	s_mul_i32 s30, s29, s31
	s_add_co_ci_u32 s31, s28, 0
	s_wait_alu 0xfffe
	s_add_nc_u64 s[30:31], s[2:3], s[30:31]
	s_wait_alu 0xfffe
	v_add_co_u32 v8, s2, v2, s30
	s_delay_alu instid0(VALU_DEP_1) | instskip(SKIP_1) | instid1(VALU_DEP_1)
	s_cmp_lg_u32 s2, 0
	s_add_co_ci_u32 s2, s29, s31
	v_mul_hi_u32 v12, v6, v8
	s_wait_alu 0xfffe
	v_mad_co_u64_u32 v[2:3], null, v6, s2, 0
	v_mad_co_u64_u32 v[8:9], null, v7, v8, 0
	;; [unrolled: 1-line block ×3, first 2 shown]
	s_delay_alu instid0(VALU_DEP_3) | instskip(SKIP_1) | instid1(VALU_DEP_4)
	v_add_co_u32 v2, vcc_lo, v12, v2
	s_wait_alu 0xfffd
	v_add_co_ci_u32_e32 v3, vcc_lo, 0, v3, vcc_lo
	s_delay_alu instid0(VALU_DEP_2) | instskip(SKIP_1) | instid1(VALU_DEP_2)
	v_add_co_u32 v2, vcc_lo, v2, v8
	s_wait_alu 0xfffd
	v_add_co_ci_u32_e32 v2, vcc_lo, v3, v9, vcc_lo
	s_wait_alu 0xfffd
	v_add_co_ci_u32_e32 v3, vcc_lo, 0, v11, vcc_lo
	s_delay_alu instid0(VALU_DEP_2) | instskip(SKIP_1) | instid1(VALU_DEP_2)
	v_add_co_u32 v8, vcc_lo, v2, v10
	s_wait_alu 0xfffd
	v_add_co_ci_u32_e32 v9, vcc_lo, 0, v3, vcc_lo
	s_delay_alu instid0(VALU_DEP_2) | instskip(SKIP_1) | instid1(VALU_DEP_3)
	v_mul_lo_u32 v10, s25, v8
	v_mad_co_u64_u32 v[2:3], null, s24, v8, 0
	v_mul_lo_u32 v11, s24, v9
	s_delay_alu instid0(VALU_DEP_2) | instskip(NEXT) | instid1(VALU_DEP_2)
	v_sub_co_u32 v2, vcc_lo, v6, v2
	v_add3_u32 v3, v3, v11, v10
	s_delay_alu instid0(VALU_DEP_1) | instskip(SKIP_1) | instid1(VALU_DEP_1)
	v_sub_nc_u32_e32 v10, v7, v3
	s_wait_alu 0xfffd
	v_subrev_co_ci_u32_e64 v10, s2, s25, v10, vcc_lo
	v_add_co_u32 v11, s2, v8, 2
	s_wait_alu 0xf1ff
	v_add_co_ci_u32_e64 v12, s2, 0, v9, s2
	v_sub_co_u32 v13, s2, v2, s24
	v_sub_co_ci_u32_e32 v3, vcc_lo, v7, v3, vcc_lo
	s_wait_alu 0xf1ff
	v_subrev_co_ci_u32_e64 v10, s2, 0, v10, s2
	s_delay_alu instid0(VALU_DEP_3) | instskip(NEXT) | instid1(VALU_DEP_3)
	v_cmp_le_u32_e32 vcc_lo, s24, v13
	v_cmp_eq_u32_e64 s2, s25, v3
	s_wait_alu 0xfffd
	v_cndmask_b32_e64 v13, 0, -1, vcc_lo
	v_cmp_le_u32_e32 vcc_lo, s25, v10
	s_wait_alu 0xfffd
	v_cndmask_b32_e64 v14, 0, -1, vcc_lo
	v_cmp_le_u32_e32 vcc_lo, s24, v2
	;; [unrolled: 3-line block ×3, first 2 shown]
	s_wait_alu 0xfffd
	v_cndmask_b32_e64 v15, 0, -1, vcc_lo
	v_cmp_eq_u32_e32 vcc_lo, s25, v10
	s_wait_alu 0xf1ff
	s_delay_alu instid0(VALU_DEP_2)
	v_cndmask_b32_e64 v2, v15, v2, s2
	s_wait_alu 0xfffd
	v_cndmask_b32_e32 v10, v14, v13, vcc_lo
	v_add_co_u32 v13, vcc_lo, v8, 1
	s_wait_alu 0xfffd
	v_add_co_ci_u32_e32 v14, vcc_lo, 0, v9, vcc_lo
	s_delay_alu instid0(VALU_DEP_3) | instskip(SKIP_1) | instid1(VALU_DEP_2)
	v_cmp_ne_u32_e32 vcc_lo, 0, v10
	s_wait_alu 0xfffd
	v_dual_cndmask_b32 v3, v14, v12 :: v_dual_cndmask_b32 v10, v13, v11
	v_cmp_ne_u32_e32 vcc_lo, 0, v2
	s_wait_alu 0xfffd
	s_delay_alu instid0(VALU_DEP_2)
	v_dual_cndmask_b32 v75, v9, v3 :: v_dual_cndmask_b32 v74, v8, v10
.LBB0_4:                                ;   in Loop: Header=BB0_2 Depth=1
	s_wait_alu 0xfffe
	s_and_not1_saveexec_b32 s2, s26
	s_cbranch_execz .LBB0_6
; %bb.5:                                ;   in Loop: Header=BB0_2 Depth=1
	v_cvt_f32_u32_e32 v2, s24
	s_sub_co_i32 s26, 0, s24
	v_mov_b32_e32 v75, v1
	s_delay_alu instid0(VALU_DEP_2) | instskip(NEXT) | instid1(TRANS32_DEP_1)
	v_rcp_iflag_f32_e32 v2, v2
	v_mul_f32_e32 v2, 0x4f7ffffe, v2
	s_delay_alu instid0(VALU_DEP_1) | instskip(SKIP_1) | instid1(VALU_DEP_1)
	v_cvt_u32_f32_e32 v2, v2
	s_wait_alu 0xfffe
	v_mul_lo_u32 v3, s26, v2
	s_delay_alu instid0(VALU_DEP_1) | instskip(NEXT) | instid1(VALU_DEP_1)
	v_mul_hi_u32 v3, v2, v3
	v_add_nc_u32_e32 v2, v2, v3
	s_delay_alu instid0(VALU_DEP_1) | instskip(NEXT) | instid1(VALU_DEP_1)
	v_mul_hi_u32 v2, v6, v2
	v_mul_lo_u32 v3, v2, s24
	v_add_nc_u32_e32 v8, 1, v2
	s_delay_alu instid0(VALU_DEP_2) | instskip(NEXT) | instid1(VALU_DEP_1)
	v_sub_nc_u32_e32 v3, v6, v3
	v_subrev_nc_u32_e32 v9, s24, v3
	v_cmp_le_u32_e32 vcc_lo, s24, v3
	s_wait_alu 0xfffd
	s_delay_alu instid0(VALU_DEP_2) | instskip(NEXT) | instid1(VALU_DEP_1)
	v_dual_cndmask_b32 v3, v3, v9 :: v_dual_cndmask_b32 v2, v2, v8
	v_cmp_le_u32_e32 vcc_lo, s24, v3
	s_delay_alu instid0(VALU_DEP_2) | instskip(SKIP_1) | instid1(VALU_DEP_1)
	v_add_nc_u32_e32 v8, 1, v2
	s_wait_alu 0xfffd
	v_cndmask_b32_e32 v74, v2, v8, vcc_lo
.LBB0_6:                                ;   in Loop: Header=BB0_2 Depth=1
	s_wait_alu 0xfffe
	s_or_b32 exec_lo, exec_lo, s2
	v_mul_lo_u32 v8, v75, s24
	s_delay_alu instid0(VALU_DEP_2)
	v_mul_lo_u32 v9, v74, s25
	s_load_b64 s[26:27], s[18:19], 0x0
	v_mad_co_u64_u32 v[2:3], null, v74, s24, 0
	s_load_b64 s[24:25], s[16:17], 0x0
	s_add_nc_u64 s[20:21], s[20:21], 1
	s_add_nc_u64 s[16:17], s[16:17], 8
	s_wait_alu 0xfffe
	v_cmp_ge_u64_e64 s2, s[20:21], s[10:11]
	s_add_nc_u64 s[18:19], s[18:19], 8
	s_add_nc_u64 s[22:23], s[22:23], 8
	v_add3_u32 v3, v3, v9, v8
	v_sub_co_u32 v2, vcc_lo, v6, v2
	s_wait_alu 0xfffd
	s_delay_alu instid0(VALU_DEP_2) | instskip(SKIP_2) | instid1(VALU_DEP_1)
	v_sub_co_ci_u32_e32 v3, vcc_lo, v7, v3, vcc_lo
	s_and_b32 vcc_lo, exec_lo, s2
	s_wait_kmcnt 0x0
	v_mul_lo_u32 v6, s26, v3
	v_mul_lo_u32 v7, s27, v2
	v_mad_co_u64_u32 v[4:5], null, s26, v2, v[4:5]
	v_mul_lo_u32 v3, s24, v3
	v_mul_lo_u32 v8, s25, v2
	v_mad_co_u64_u32 v[72:73], null, s24, v2, v[72:73]
	s_delay_alu instid0(VALU_DEP_4) | instskip(NEXT) | instid1(VALU_DEP_2)
	v_add3_u32 v5, v7, v5, v6
	v_add3_u32 v73, v8, v73, v3
	s_wait_alu 0xfffe
	s_cbranch_vccnz .LBB0_9
; %bb.7:                                ;   in Loop: Header=BB0_2 Depth=1
	v_dual_mov_b32 v6, v74 :: v_dual_mov_b32 v7, v75
	s_branch .LBB0_2
.LBB0_8:
	v_dual_mov_b32 v73, v5 :: v_dual_mov_b32 v72, v4
	v_dual_mov_b32 v75, v7 :: v_dual_mov_b32 v74, v6
.LBB0_9:
	s_load_b64 s[0:1], s[0:1], 0x28
	v_mul_hi_u32 v1, 0x2082083, v0
	s_lshl_b64 s[10:11], s[10:11], 3
                                        ; implicit-def: $vgpr86
	s_wait_kmcnt 0x0
	v_cmp_gt_u64_e32 vcc_lo, s[0:1], v[74:75]
	v_cmp_le_u64_e64 s0, s[0:1], v[74:75]
	s_delay_alu instid0(VALU_DEP_1)
	s_and_saveexec_b32 s1, s0
	s_wait_alu 0xfffe
	s_xor_b32 s0, exec_lo, s1
; %bb.10:
	v_mul_u32_u24_e32 v1, 0x7e, v1
                                        ; implicit-def: $vgpr4_vgpr5
	s_delay_alu instid0(VALU_DEP_1)
	v_sub_nc_u32_e32 v86, v0, v1
                                        ; implicit-def: $vgpr1
                                        ; implicit-def: $vgpr0
; %bb.11:
	s_wait_alu 0xfffe
	s_or_saveexec_b32 s1, s0
	s_add_nc_u64 s[2:3], s[14:15], s[10:11]
                                        ; implicit-def: $vgpr54_vgpr55
                                        ; implicit-def: $vgpr26_vgpr27
                                        ; implicit-def: $vgpr50_vgpr51
                                        ; implicit-def: $vgpr22_vgpr23
                                        ; implicit-def: $vgpr42_vgpr43
                                        ; implicit-def: $vgpr18_vgpr19
                                        ; implicit-def: $vgpr38_vgpr39
                                        ; implicit-def: $vgpr14_vgpr15
                                        ; implicit-def: $vgpr34_vgpr35
                                        ; implicit-def: $vgpr10_vgpr11
                                        ; implicit-def: $vgpr30_vgpr31
                                        ; implicit-def: $vgpr6_vgpr7
                                        ; implicit-def: $vgpr46_vgpr47
                                        ; implicit-def: $vgpr2_vgpr3
	s_wait_alu 0xfffe
	s_xor_b32 exec_lo, exec_lo, s1
	s_cbranch_execz .LBB0_13
; %bb.12:
	s_add_nc_u64 s[10:11], s[12:13], s[10:11]
	s_load_b64 s[10:11], s[10:11], 0x0
	s_wait_kmcnt 0x0
	v_mul_lo_u32 v6, s11, v74
	v_mul_lo_u32 v7, s10, v75
	v_mad_co_u64_u32 v[2:3], null, s10, v74, 0
	s_delay_alu instid0(VALU_DEP_1) | instskip(SKIP_1) | instid1(VALU_DEP_2)
	v_add3_u32 v3, v3, v7, v6
	v_mul_u32_u24_e32 v6, 0x7e, v1
	v_lshlrev_b64_e32 v[1:2], 4, v[2:3]
	v_lshlrev_b64_e32 v[3:4], 4, v[4:5]
	s_delay_alu instid0(VALU_DEP_3) | instskip(NEXT) | instid1(VALU_DEP_3)
	v_sub_nc_u32_e32 v86, v0, v6
	v_add_co_u32 v0, s0, s4, v1
	s_wait_alu 0xf1ff
	s_delay_alu instid0(VALU_DEP_4) | instskip(NEXT) | instid1(VALU_DEP_3)
	v_add_co_ci_u32_e64 v1, s0, s5, v2, s0
	v_lshlrev_b32_e32 v2, 4, v86
	s_delay_alu instid0(VALU_DEP_3) | instskip(SKIP_1) | instid1(VALU_DEP_3)
	v_add_co_u32 v0, s0, v0, v3
	s_wait_alu 0xf1ff
	v_add_co_ci_u32_e64 v1, s0, v1, v4, s0
	s_delay_alu instid0(VALU_DEP_2) | instskip(SKIP_1) | instid1(VALU_DEP_2)
	v_add_co_u32 v52, s0, v0, v2
	s_wait_alu 0xf1ff
	v_add_co_ci_u32_e64 v53, s0, 0, v1, s0
	s_clause 0xd
	global_load_b128 v[0:3], v[52:53], off
	global_load_b128 v[4:7], v[52:53], off offset:2016
	global_load_b128 v[28:31], v[52:53], off offset:16128
	;; [unrolled: 1-line block ×13, first 2 shown]
.LBB0_13:
	s_or_b32 exec_lo, exec_lo, s1
	s_wait_loadcnt 0x3
	v_add_f64_e64 v[44:45], v[0:1], -v[44:45]
	v_add_f64_e64 v[60:61], v[2:3], -v[46:47]
	;; [unrolled: 1-line block ×10, first 2 shown]
	s_wait_loadcnt 0x1
	v_add_f64_e64 v[48:49], v[20:21], -v[48:49]
	v_add_f64_e64 v[98:99], v[22:23], -v[50:51]
	s_wait_loadcnt 0x0
	v_add_f64_e64 v[52:53], v[24:25], -v[52:53]
	v_add_f64_e64 v[28:29], v[26:27], -v[54:55]
	v_add_nc_u32_e32 v88, 0x7e, v86
	v_add_nc_u32_e32 v90, 0xfc, v86
	;; [unrolled: 1-line block ×6, first 2 shown]
	v_and_b32_e32 v80, 1, v86
	s_load_b64 s[2:3], s[2:3], 0x0
	v_cmp_gt_u32_e64 s0, 0x54, v86
	v_fma_f64 v[42:43], v[0:1], 2.0, -v[44:45]
	v_fma_f64 v[58:59], v[2:3], 2.0, -v[60:61]
	;; [unrolled: 1-line block ×14, first 2 shown]
	v_lshl_add_u32 v8, v86, 4, 0
	v_lshlrev_b32_e32 v0, 3, v86
	v_lshl_add_u32 v9, v88, 4, 0
	v_lshl_add_u32 v20, v90, 4, 0
	;; [unrolled: 1-line block ×4, first 2 shown]
	v_sub_nc_u32_e32 v87, v8, v0
	v_lshl_add_u32 v11, v70, 4, 0
	v_lshl_add_u32 v22, v71, 4, 0
	ds_store_b128 v8, v[42:45]
	ds_store_b128 v9, v[54:57]
	;; [unrolled: 1-line block ×7, first 2 shown]
	v_add_nc_u32_e32 v23, 0x1400, v87
	v_add_nc_u32_e32 v24, 0x1c00, v87
	;; [unrolled: 1-line block ×6, first 2 shown]
	global_wb scope:SCOPE_SE
	s_wait_dscnt 0x0
	s_wait_kmcnt 0x0
	s_barrier_signal -1
	s_barrier_wait -1
	global_inv scope:SCOPE_SE
	ds_load_2addr_b64 v[0:3], v87 offset1:126
	ds_load_2addr_b64 v[40:43], v23 offset0:116 offset1:242
	ds_load_2addr_b64 v[36:39], v24 offset0:112 offset1:238
	;; [unrolled: 1-line block ×6, first 2 shown]
	global_wb scope:SCOPE_SE
	s_wait_dscnt 0x0
	s_barrier_signal -1
	s_barrier_wait -1
	global_inv scope:SCOPE_SE
	ds_store_b128 v8, v[58:61]
	ds_store_b128 v9, v[62:65]
	;; [unrolled: 1-line block ×7, first 2 shown]
	v_lshlrev_b32_e32 v8, 4, v80
	global_wb scope:SCOPE_SE
	s_wait_dscnt 0x0
	s_barrier_signal -1
	s_barrier_wait -1
	global_inv scope:SCOPE_SE
	global_load_b128 v[44:47], v8, s[8:9]
	ds_load_2addr_b64 v[8:11], v23 offset0:116 offset1:242
	ds_load_2addr_b64 v[48:51], v24 offset0:112 offset1:238
	;; [unrolled: 1-line block ×4, first 2 shown]
	v_lshlrev_b32_e32 v62, 1, v91
	v_lshlrev_b32_e32 v63, 1, v89
	;; [unrolled: 1-line block ×4, first 2 shown]
	v_add_nc_u32_e32 v85, 0x1800, v87
	v_and_or_b32 v62, 0x3fc, v62, v80
	v_and_or_b32 v63, 0x7fc, v63, v80
	;; [unrolled: 1-line block ×4, first 2 shown]
	s_delay_alu instid0(VALU_DEP_4) | instskip(NEXT) | instid1(VALU_DEP_4)
	v_lshl_add_u32 v94, v62, 3, 0
	v_lshl_add_u32 v95, v63, 3, 0
	s_delay_alu instid0(VALU_DEP_4) | instskip(NEXT) | instid1(VALU_DEP_4)
	v_lshl_add_u32 v96, v64, 3, 0
	v_lshl_add_u32 v97, v65, 3, 0
	s_wait_loadcnt_dscnt 0x3
	v_mul_f64_e32 v[20:21], v[10:11], v[46:47]
	s_wait_dscnt 0x2
	v_mul_f64_e32 v[22:23], v[48:49], v[46:47]
	v_mul_f64_e32 v[24:25], v[50:51], v[46:47]
	s_wait_dscnt 0x1
	v_mul_f64_e32 v[26:27], v[56:57], v[46:47]
	;; [unrolled: 3-line block ×3, first 2 shown]
	v_mul_f64_e32 v[60:61], v[54:55], v[46:47]
	v_fma_f64 v[20:21], v[42:43], v[44:45], -v[20:21]
	v_fma_f64 v[22:23], v[36:37], v[44:45], -v[22:23]
	;; [unrolled: 1-line block ×7, first 2 shown]
	v_add_f64_e64 v[20:21], v[0:1], -v[20:21]
	v_add_f64_e64 v[22:23], v[2:3], -v[22:23]
	;; [unrolled: 1-line block ×7, first 2 shown]
	v_lshlrev_b32_e32 v60, 1, v86
	v_lshlrev_b32_e32 v61, 1, v90
	s_delay_alu instid0(VALU_DEP_1) | instskip(NEXT) | instid1(VALU_DEP_1)
	v_and_or_b32 v61, 0x3fc, v61, v80
	v_lshl_add_u32 v93, v61, 3, 0
	v_fma_f64 v[0:1], v[0:1], 2.0, -v[20:21]
	v_fma_f64 v[2:3], v[2:3], 2.0, -v[22:23]
	v_fma_f64 v[4:5], v[4:5], 2.0, -v[24:25]
	v_fma_f64 v[6:7], v[6:7], 2.0, -v[26:27]
	v_fma_f64 v[16:17], v[16:17], 2.0, -v[28:29]
	v_fma_f64 v[18:19], v[18:19], 2.0, -v[30:31]
	v_fma_f64 v[76:77], v[40:41], 2.0, -v[78:79]
	v_and_or_b32 v40, 0xfc, v60, v80
	v_lshlrev_b32_e32 v60, 1, v88
	s_delay_alu instid0(VALU_DEP_2) | instskip(NEXT) | instid1(VALU_DEP_2)
	v_lshl_add_u32 v41, v40, 3, 0
	v_and_or_b32 v60, 0x1fc, v60, v80
	v_add_nc_u32_e32 v40, 0x1000, v87
	s_delay_alu instid0(VALU_DEP_2)
	v_lshl_add_u32 v92, v60, 3, 0
	ds_load_2addr_b64 v[68:71], v87 offset1:126
	ds_load_2addr_b64 v[64:67], v82 offset0:124 offset1:250
	ds_load_2addr_b64 v[60:63], v81 offset0:120 offset1:246
	global_wb scope:SCOPE_SE
	s_wait_dscnt 0x0
	s_barrier_signal -1
	s_barrier_wait -1
	global_inv scope:SCOPE_SE
	ds_store_2addr_b64 v41, v[0:1], v[20:21] offset1:2
	ds_store_2addr_b64 v92, v[2:3], v[22:23] offset1:2
	;; [unrolled: 1-line block ×7, first 2 shown]
	global_wb scope:SCOPE_SE
	s_wait_dscnt 0x0
	s_barrier_signal -1
	s_barrier_wait -1
	global_inv scope:SCOPE_SE
	ds_load_2addr_b64 v[4:7], v87 offset1:126
	ds_load_2addr_b64 v[24:27], v40 offset0:76 offset1:202
	ds_load_2addr_b64 v[28:31], v84 offset0:24 offset1:150
	;; [unrolled: 1-line block ×5, first 2 shown]
                                        ; implicit-def: $vgpr80_vgpr81
	s_and_saveexec_b32 s1, s0
	s_cbranch_execz .LBB0_15
; %bb.14:
	ds_load_b64 v[76:77], v87 offset:4032
	ds_load_b64 v[78:79], v87 offset:8736
	;; [unrolled: 1-line block ×3, first 2 shown]
.LBB0_15:
	s_wait_alu 0xfffe
	s_or_b32 exec_lo, exec_lo, s1
	v_mul_f64_e32 v[42:43], v[42:43], v[46:47]
	v_mul_f64_e32 v[36:37], v[36:37], v[46:47]
	;; [unrolled: 1-line block ×7, first 2 shown]
	global_wb scope:SCOPE_SE
	s_wait_dscnt 0x0
	s_barrier_signal -1
	s_barrier_wait -1
	global_inv scope:SCOPE_SE
	v_fma_f64 v[10:11], v[10:11], v[44:45], v[42:43]
	v_fma_f64 v[36:37], v[48:49], v[44:45], v[36:37]
	;; [unrolled: 1-line block ×7, first 2 shown]
	v_add_f64_e64 v[10:11], v[68:69], -v[10:11]
	v_add_f64_e64 v[36:37], v[70:71], -v[36:37]
	;; [unrolled: 1-line block ×7, first 2 shown]
	v_fma_f64 v[14:15], v[68:69], 2.0, -v[10:11]
	v_fma_f64 v[42:43], v[70:71], 2.0, -v[36:37]
	;; [unrolled: 1-line block ×7, first 2 shown]
	ds_store_2addr_b64 v41, v[14:15], v[10:11] offset1:2
	ds_store_2addr_b64 v92, v[42:43], v[36:37] offset1:2
	;; [unrolled: 1-line block ×7, first 2 shown]
	global_wb scope:SCOPE_SE
	s_wait_dscnt 0x0
	s_barrier_signal -1
	s_barrier_wait -1
	global_inv scope:SCOPE_SE
	ds_load_2addr_b64 v[12:15], v87 offset1:126
	ds_load_2addr_b64 v[40:43], v40 offset0:76 offset1:202
	ds_load_2addr_b64 v[44:47], v84 offset0:24 offset1:150
	;; [unrolled: 1-line block ×5, first 2 shown]
                                        ; implicit-def: $vgpr52_vgpr53
	s_and_saveexec_b32 s1, s0
	s_cbranch_execz .LBB0_17
; %bb.16:
	ds_load_b64 v[50:51], v87 offset:4032
	ds_load_b64 v[48:49], v87 offset:8736
	;; [unrolled: 1-line block ×3, first 2 shown]
.LBB0_17:
	s_wait_alu 0xfffe
	s_or_b32 exec_lo, exec_lo, s1
	v_and_b32_e32 v92, 3, v86
	v_and_b32_e32 v131, 3, v91
	;; [unrolled: 1-line block ×3, first 2 shown]
	s_mov_b32 s4, 0xe8584caa
	s_mov_b32 s5, 0x3febb67a
	v_lshlrev_b32_e32 v58, 5, v92
	v_lshlrev_b32_e32 v59, 5, v131
	;; [unrolled: 1-line block ×3, first 2 shown]
	s_mov_b32 s11, 0xbfebb67a
	s_wait_alu 0xfffe
	s_mov_b32 s10, s4
	s_clause 0x6
	global_load_b128 v[54:57], v58, s[8:9] offset:32
	global_load_b128 v[93:96], v58, s[8:9] offset:48
	;; [unrolled: 1-line block ×5, first 2 shown]
	global_load_b64 v[58:59], v59, s[8:9] offset:56
	global_load_b64 v[109:110], v60, s[8:9] offset:32
	global_wb scope:SCOPE_SE
	s_wait_loadcnt_dscnt 0x0
	s_barrier_signal -1
	s_barrier_wait -1
	global_inv scope:SCOPE_SE
	v_mul_f64_e32 v[60:61], v[40:41], v[56:57]
	v_mul_f64_e32 v[62:63], v[44:45], v[95:96]
	v_mul_f64_e32 v[64:65], v[42:43], v[99:100]
	v_mul_f64_e32 v[68:69], v[36:37], v[56:57]
	v_mul_f64_e32 v[70:71], v[32:33], v[95:96]
	v_mul_f64_e32 v[111:112], v[38:39], v[105:106]
	v_mul_f64_e32 v[113:114], v[34:35], v[58:59]
	v_mul_f64_e32 v[115:116], v[48:49], v[56:57]
	v_mul_f64_e32 v[117:118], v[52:53], v[95:96]
	v_mul_f64_e32 v[66:67], v[46:47], v[103:104]
	v_mul_f64_e32 v[119:120], v[24:25], v[56:57]
	v_mul_f64_e32 v[121:122], v[28:29], v[95:96]
	v_mul_f64_e32 v[99:100], v[26:27], v[99:100]
	v_mul_f64_e32 v[103:104], v[30:31], v[103:104]
	v_mul_f64_e32 v[123:124], v[16:17], v[56:57]
	v_mul_f64_e32 v[125:126], v[20:21], v[95:96]
	v_mul_f64_e32 v[127:128], v[22:23], v[58:59]
	v_mul_f64_e32 v[129:130], v[78:79], v[56:57]
	v_mul_f64_e32 v[95:96], v[80:81], v[95:96]
	v_mul_f64_e32 v[105:106], v[18:19], v[105:106]
	v_fma_f64 v[82:83], v[24:25], v[54:55], -v[60:61]
	v_fma_f64 v[84:85], v[28:29], v[93:94], -v[62:63]
	;; [unrolled: 1-line block ×10, first 2 shown]
	v_fma_f64 v[78:79], v[40:41], v[54:55], v[119:120]
	v_fma_f64 v[40:41], v[44:45], v[93:94], v[121:122]
	;; [unrolled: 1-line block ×10, first 2 shown]
	v_add_f64_e32 v[26:27], v[4:5], v[82:83]
	v_add_f64_e32 v[16:17], v[82:83], v[84:85]
	v_add_f64_e32 v[30:31], v[6:7], v[58:59]
	v_add_f64_e32 v[48:49], v[0:1], v[60:61]
	v_add_f64_e32 v[20:21], v[60:61], v[68:69]
	v_add_f64_e32 v[52:53], v[2:3], v[62:63]
	v_add_f64_e32 v[22:23], v[62:63], v[70:71]
	v_add_f64_e32 v[54:55], v[76:77], v[56:57]
	v_add_f64_e32 v[24:25], v[56:57], v[64:65]
	v_add_f64_e32 v[18:19], v[58:59], v[66:67]
	v_add_f64_e64 v[28:29], v[78:79], -v[40:41]
	v_add_f64_e32 v[26:27], v[26:27], v[84:85]
	v_fma_f64 v[4:5], v[16:17], -0.5, v[4:5]
	v_add_f64_e64 v[16:17], v[44:45], -v[42:43]
	v_add_f64_e32 v[96:97], v[48:49], v[68:69]
	v_fma_f64 v[0:1], v[20:21], -0.5, v[0:1]
	v_add_f64_e64 v[20:21], v[38:39], -v[34:35]
	v_fma_f64 v[2:3], v[22:23], -0.5, v[2:3]
	v_add_f64_e64 v[22:23], v[80:81], -v[46:47]
	v_fma_f64 v[24:25], v[24:25], -0.5, v[76:77]
	v_fma_f64 v[6:7], v[18:19], -0.5, v[6:7]
	v_add_f64_e64 v[18:19], v[36:37], -v[32:33]
	v_add_f64_e32 v[98:99], v[52:53], v[70:71]
	v_add_f64_e32 v[48:49], v[54:55], v[64:65]
	;; [unrolled: 1-line block ×3, first 2 shown]
	v_lshrrev_b32_e32 v76, 2, v89
	v_fma_f64 v[100:101], v[28:29], s[4:5], v[4:5]
	s_wait_alu 0xfffe
	v_fma_f64 v[4:5], v[28:29], s[10:11], v[4:5]
	v_fma_f64 v[54:55], v[22:23], s[4:5], v[24:25]
	;; [unrolled: 1-line block ×9, first 2 shown]
	v_lshrrev_b32_e32 v20, 2, v86
	v_lshrrev_b32_e32 v21, 2, v88
	;; [unrolled: 1-line block ×4, first 2 shown]
	s_delay_alu instid0(VALU_DEP_4) | instskip(NEXT) | instid1(VALU_DEP_4)
	v_mul_u32_u24_e32 v20, 12, v20
	v_mul_u32_u24_e32 v21, 12, v21
	s_delay_alu instid0(VALU_DEP_4) | instskip(NEXT) | instid1(VALU_DEP_4)
	v_mul_u32_u24_e32 v22, 12, v22
	v_mul_u32_u24_e32 v23, 12, v23
	s_delay_alu instid0(VALU_DEP_4) | instskip(NEXT) | instid1(VALU_DEP_4)
	v_or_b32_e32 v20, v20, v92
	v_or_b32_e32 v21, v21, v132
	s_delay_alu instid0(VALU_DEP_4) | instskip(NEXT) | instid1(VALU_DEP_4)
	v_or_b32_e32 v22, v22, v92
	v_or_b32_e32 v23, v23, v131
	s_delay_alu instid0(VALU_DEP_4) | instskip(NEXT) | instid1(VALU_DEP_4)
	v_lshl_add_u32 v94, v20, 3, 0
	v_lshl_add_u32 v95, v21, 3, 0
	s_delay_alu instid0(VALU_DEP_4) | instskip(NEXT) | instid1(VALU_DEP_4)
	v_lshl_add_u32 v93, v22, 3, 0
	v_lshl_add_u32 v77, v23, 3, 0
	ds_store_2addr_b64 v94, v[26:27], v[100:101] offset1:4
	ds_store_b64 v94, v[4:5] offset:64
	ds_store_2addr_b64 v95, v[30:31], v[28:29] offset1:4
	ds_store_b64 v95, v[6:7] offset:64
	;; [unrolled: 2-line block ×4, first 2 shown]
	s_and_saveexec_b32 s1, s0
	s_cbranch_execz .LBB0_19
; %bb.18:
	v_mul_u32_u24_e32 v0, 12, v76
	s_delay_alu instid0(VALU_DEP_1) | instskip(NEXT) | instid1(VALU_DEP_1)
	v_or_b32_e32 v0, v0, v92
	v_lshl_add_u32 v0, v0, 3, 0
	ds_store_2addr_b64 v0, v[48:49], v[54:55] offset1:4
	ds_store_b64 v0, v[52:53] offset:64
.LBB0_19:
	s_wait_alu 0xfffe
	s_or_b32 exec_lo, exec_lo, s1
	v_add_nc_u32_e32 v4, 0x1000, v87
	v_add_nc_u32_e32 v5, 0x2400, v87
	;; [unrolled: 1-line block ×5, first 2 shown]
	global_wb scope:SCOPE_SE
	s_wait_dscnt 0x0
	s_barrier_signal -1
	s_barrier_wait -1
	global_inv scope:SCOPE_SE
	ds_load_2addr_b64 v[0:3], v87 offset1:126
	ds_load_2addr_b64 v[24:27], v4 offset0:76 offset1:202
	ds_load_2addr_b64 v[28:31], v5 offset0:24 offset1:150
	;; [unrolled: 1-line block ×5, first 2 shown]
	s_and_saveexec_b32 s1, s0
	s_cbranch_execz .LBB0_21
; %bb.20:
	ds_load_b64 v[48:49], v87 offset:4032
	ds_load_b64 v[54:55], v87 offset:8736
	;; [unrolled: 1-line block ×3, first 2 shown]
.LBB0_21:
	s_wait_alu 0xfffe
	s_or_b32 exec_lo, exec_lo, s1
	v_add_f64_e32 v[96:97], v[78:79], v[40:41]
	v_add_f64_e32 v[98:99], v[44:45], v[42:43]
	;; [unrolled: 1-line block ×6, first 2 shown]
	v_add_f64_e64 v[82:83], v[82:83], -v[84:85]
	v_add_f64_e32 v[44:45], v[14:15], v[44:45]
	v_add_f64_e32 v[36:37], v[8:9], v[36:37]
	;; [unrolled: 1-line block ×4, first 2 shown]
	v_add_f64_e64 v[58:59], v[58:59], -v[66:67]
	v_add_f64_e64 v[56:57], v[56:57], -v[64:65]
	;; [unrolled: 1-line block ×4, first 2 shown]
	s_mov_b32 s4, 0xe8584caa
	s_mov_b32 s5, 0xbfebb67a
	;; [unrolled: 1-line block ×3, first 2 shown]
	s_wait_alu 0xfffe
	s_mov_b32 s10, s4
	global_wb scope:SCOPE_SE
	s_wait_dscnt 0x0
	s_barrier_signal -1
	s_barrier_wait -1
	global_inv scope:SCOPE_SE
	v_fma_f64 v[12:13], v[96:97], -0.5, v[12:13]
	v_fma_f64 v[14:15], v[98:99], -0.5, v[14:15]
	;; [unrolled: 1-line block ×5, first 2 shown]
	v_add_f64_e32 v[40:41], v[78:79], v[40:41]
	v_add_f64_e32 v[42:43], v[44:45], v[42:43]
	;; [unrolled: 1-line block ×5, first 2 shown]
	v_fma_f64 v[36:37], v[82:83], s[4:5], v[12:13]
	v_fma_f64 v[38:39], v[58:59], s[4:5], v[14:15]
	s_wait_alu 0xfffe
	v_fma_f64 v[14:15], v[58:59], s[10:11], v[14:15]
	v_fma_f64 v[58:59], v[56:57], s[4:5], v[64:65]
	;; [unrolled: 1-line block ×8, first 2 shown]
	ds_store_2addr_b64 v94, v[40:41], v[36:37] offset1:4
	ds_store_b64 v94, v[12:13] offset:64
	ds_store_2addr_b64 v95, v[42:43], v[38:39] offset1:4
	ds_store_b64 v95, v[14:15] offset:64
	;; [unrolled: 2-line block ×4, first 2 shown]
	s_and_saveexec_b32 s1, s0
	s_cbranch_execz .LBB0_23
; %bb.22:
	v_mul_u32_u24_e32 v8, 12, v76
	s_delay_alu instid0(VALU_DEP_1) | instskip(NEXT) | instid1(VALU_DEP_1)
	v_or_b32_e32 v8, v8, v92
	v_lshl_add_u32 v8, v8, 3, 0
	ds_store_2addr_b64 v8, v[50:51], v[58:59] offset1:4
	ds_store_b64 v8, v[56:57] offset:64
.LBB0_23:
	s_wait_alu 0xfffe
	s_or_b32 exec_lo, exec_lo, s1
	v_add_nc_u32_e32 v12, 0x1000, v87
	v_add_nc_u32_e32 v13, 0x2400, v87
	;; [unrolled: 1-line block ×5, first 2 shown]
	global_wb scope:SCOPE_SE
	s_wait_dscnt 0x0
	s_barrier_signal -1
	s_barrier_wait -1
	global_inv scope:SCOPE_SE
	ds_load_2addr_b64 v[8:11], v87 offset1:126
	ds_load_2addr_b64 v[40:43], v12 offset0:76 offset1:202
	ds_load_2addr_b64 v[44:47], v13 offset0:24 offset1:150
	ds_load_2addr_b64 v[12:15], v14 offset0:124 offset1:250
	ds_load_2addr_b64 v[36:39], v32 offset0:72 offset1:198
	ds_load_2addr_b64 v[32:35], v33 offset0:20 offset1:146
	s_and_saveexec_b32 s1, s0
	s_cbranch_execz .LBB0_25
; %bb.24:
	ds_load_b64 v[50:51], v87 offset:4032
	ds_load_b64 v[58:59], v87 offset:8736
	;; [unrolled: 1-line block ×3, first 2 shown]
.LBB0_25:
	s_wait_alu 0xfffe
	s_or_b32 exec_lo, exec_lo, s1
	v_and_b32_e32 v69, 0xff, v86
	v_and_b32_e32 v68, 0xff, v88
	;; [unrolled: 1-line block ×4, first 2 shown]
	s_mov_b32 s4, 0xe8584caa
	v_mul_lo_u16 v61, 0xab, v69
	v_mul_lo_u16 v63, 0xab, v68
	v_mul_u32_u24_e32 v60, 0xaaab, v60
	s_mov_b32 s5, 0x3febb67a
	s_mov_b32 s11, 0xbfebb67a
	v_lshrrev_b16 v126, 11, v61
	v_mul_u32_u24_e32 v61, 0xaaab, v62
	v_lshrrev_b16 v127, 11, v63
	v_lshrrev_b32_e32 v128, 19, v60
	s_wait_alu 0xfffe
	s_mov_b32 s10, s4
	v_mul_lo_u16 v60, v126, 12
	v_lshrrev_b32_e32 v129, 19, v61
	v_mul_lo_u16 v61, v127, 12
	v_mul_lo_u16 v62, v128, 12
	s_delay_alu instid0(VALU_DEP_4) | instskip(NEXT) | instid1(VALU_DEP_4)
	v_sub_nc_u16 v60, v86, v60
	v_mul_lo_u16 v63, v129, 12
	s_delay_alu instid0(VALU_DEP_4) | instskip(NEXT) | instid1(VALU_DEP_4)
	v_sub_nc_u16 v61, v88, v61
	v_sub_nc_u16 v62, v90, v62
	s_delay_alu instid0(VALU_DEP_4) | instskip(NEXT) | instid1(VALU_DEP_4)
	v_and_b32_e32 v130, 0xff, v60
	v_sub_nc_u16 v60, v91, v63
	s_delay_alu instid0(VALU_DEP_4) | instskip(NEXT) | instid1(VALU_DEP_4)
	v_and_b32_e32 v131, 0xff, v61
	v_and_b32_e32 v132, 0xffff, v62
	s_delay_alu instid0(VALU_DEP_4) | instskip(NEXT) | instid1(VALU_DEP_4)
	v_lshlrev_b32_e32 v61, 5, v130
	v_and_b32_e32 v133, 0xffff, v60
	s_delay_alu instid0(VALU_DEP_4) | instskip(NEXT) | instid1(VALU_DEP_4)
	v_lshlrev_b32_e32 v60, 5, v131
	v_lshlrev_b32_e32 v62, 5, v132
	s_clause 0x1
	global_load_b128 v[64:67], v61, s[8:9] offset:176
	global_load_b128 v[76:79], v61, s[8:9] offset:160
	v_lshlrev_b32_e32 v61, 5, v133
	s_clause 0x5
	global_load_b128 v[80:83], v60, s[8:9] offset:160
	global_load_b128 v[90:93], v60, s[8:9] offset:176
	;; [unrolled: 1-line block ×6, first 2 shown]
	v_and_b32_e32 v60, 0xffff, v89
	s_delay_alu instid0(VALU_DEP_1) | instskip(NEXT) | instid1(VALU_DEP_1)
	v_mul_u32_u24_e32 v60, 0xaaab, v60
	v_lshrrev_b32_e32 v134, 19, v60
	s_delay_alu instid0(VALU_DEP_1) | instskip(NEXT) | instid1(VALU_DEP_1)
	v_mul_lo_u16 v60, v134, 12
	v_sub_nc_u16 v60, v89, v60
	s_delay_alu instid0(VALU_DEP_1) | instskip(NEXT) | instid1(VALU_DEP_1)
	v_and_b32_e32 v135, 0xffff, v60
	v_lshlrev_b32_e32 v60, 5, v135
	s_clause 0x1
	global_load_b128 v[110:113], v60, s[8:9] offset:160
	global_load_b128 v[114:117], v60, s[8:9] offset:176
	global_wb scope:SCOPE_SE
	s_wait_loadcnt_dscnt 0x0
	s_barrier_signal -1
	s_barrier_wait -1
	global_inv scope:SCOPE_SE
	v_mul_f64_e32 v[70:71], v[42:43], v[82:83]
	v_mul_f64_e32 v[84:85], v[46:47], v[92:93]
	;; [unrolled: 1-line block ×16, first 2 shown]
	v_fma_f64 v[62:63], v[28:29], v[64:65], -v[62:63]
	v_fma_f64 v[60:61], v[24:25], v[76:77], -v[60:61]
	;; [unrolled: 1-line block ×8, first 2 shown]
	v_fma_f64 v[40:41], v[40:41], v[76:77], v[78:79]
	v_fma_f64 v[18:19], v[44:45], v[64:65], v[66:67]
	;; [unrolled: 1-line block ×8, first 2 shown]
	v_mul_f64_e32 v[70:71], v[58:59], v[112:113]
	v_mul_f64_e32 v[76:77], v[54:55], v[112:113]
	;; [unrolled: 1-line block ×4, first 2 shown]
	v_add_f64_e32 v[46:47], v[60:61], v[62:63]
	v_add_f64_e32 v[80:81], v[0:1], v[60:61]
	;; [unrolled: 1-line block ×8, first 2 shown]
	v_add_f64_e64 v[82:83], v[40:41], -v[18:19]
	v_add_f64_e64 v[93:94], v[36:37], -v[44:45]
	;; [unrolled: 1-line block ×3, first 2 shown]
	v_fma_f64 v[0:1], v[46:47], -0.5, v[0:1]
	v_add_f64_e64 v[46:47], v[42:43], -v[22:23]
	v_fma_f64 v[2:3], v[32:33], -0.5, v[2:3]
	v_fma_f64 v[32:33], v[58:59], v[110:111], v[76:77]
	v_fma_f64 v[4:5], v[38:39], -0.5, v[4:5]
	v_fma_f64 v[38:39], v[52:53], v[114:115], -v[78:79]
	v_fma_f64 v[6:7], v[34:35], -0.5, v[6:7]
	v_fma_f64 v[34:35], v[54:55], v[110:111], -v[70:71]
	v_add_f64_e32 v[58:59], v[80:81], v[62:63]
	v_add_f64_e32 v[70:71], v[84:85], v[28:29]
	;; [unrolled: 1-line block ×4, first 2 shown]
	v_and_b32_e32 v53, 0xffff, v126
	v_and_b32_e32 v54, 0xffff, v127
	v_mul_u32_u24_e32 v55, 0x120, v128
	v_mul_u32_u24_e32 v91, 0x120, v129
	v_lshlrev_b32_e32 v92, 3, v131
	v_mul_lo_u16 v52, v134, 36
	v_mul_u32_u24_e32 v54, 0x120, v54
	v_fma_f64 v[80:81], v[82:83], s[4:5], v[0:1]
	s_wait_alu 0xfffe
	v_fma_f64 v[0:1], v[82:83], s[10:11], v[0:1]
	v_fma_f64 v[82:83], v[46:47], s[4:5], v[2:3]
	v_fma_f64 v[2:3], v[46:47], s[10:11], v[2:3]
	v_fma_f64 v[46:47], v[56:57], v[114:115], v[97:98]
	v_fma_f64 v[84:85], v[93:94], s[4:5], v[4:5]
	v_fma_f64 v[4:5], v[93:94], s[10:11], v[4:5]
	v_fma_f64 v[89:90], v[95:96], s[4:5], v[6:7]
	v_fma_f64 v[6:7], v[95:96], s[10:11], v[6:7]
	v_mul_u32_u24_e32 v56, 0x120, v53
	v_lshlrev_b32_e32 v57, 3, v130
	v_lshlrev_b32_e32 v93, 3, v132
	;; [unrolled: 1-line block ×4, first 2 shown]
	s_delay_alu instid0(VALU_DEP_4)
	v_add3_u32 v56, 0, v56, v57
	v_add3_u32 v57, 0, v54, v92
	;; [unrolled: 1-line block ×4, first 2 shown]
	ds_store_2addr_b64 v56, v[58:59], v[80:81] offset1:12
	ds_store_b64 v56, v[0:1] offset:192
	ds_store_2addr_b64 v57, v[70:71], v[82:83] offset1:12
	ds_store_b64 v57, v[2:3] offset:192
	;; [unrolled: 2-line block ×4, first 2 shown]
	s_and_saveexec_b32 s1, s0
	s_cbranch_execz .LBB0_27
; %bb.26:
	v_add_f64_e32 v[0:1], v[34:35], v[38:39]
	v_add_f64_e64 v[2:3], v[32:33], -v[46:47]
	v_add_f64_e32 v[4:5], v[48:49], v[34:35]
	s_delay_alu instid0(VALU_DEP_3) | instskip(NEXT) | instid1(VALU_DEP_2)
	v_fma_f64 v[0:1], v[0:1], -0.5, v[48:49]
	v_add_f64_e32 v[4:5], v[4:5], v[38:39]
	s_delay_alu instid0(VALU_DEP_2) | instskip(SKIP_2) | instid1(VALU_DEP_1)
	v_fma_f64 v[6:7], v[2:3], s[4:5], v[0:1]
	v_fma_f64 v[0:1], v[2:3], s[10:11], v[0:1]
	v_and_b32_e32 v2, 0xffff, v52
	v_lshlrev_b32_e32 v2, 3, v2
	s_delay_alu instid0(VALU_DEP_1)
	v_add3_u32 v2, 0, v53, v2
	ds_store_2addr_b64 v2, v[4:5], v[6:7] offset1:12
	ds_store_b64 v2, v[0:1] offset:192
.LBB0_27:
	s_wait_alu 0xfffe
	s_or_b32 exec_lo, exec_lo, s1
	v_add_f64_e32 v[0:1], v[40:41], v[18:19]
	v_add_f64_e32 v[2:3], v[42:43], v[22:23]
	;; [unrolled: 1-line block ×5, first 2 shown]
	v_add_f64_e64 v[48:49], v[60:61], -v[62:63]
	v_add_f64_e32 v[42:43], v[10:11], v[42:43]
	v_add_f64_e32 v[58:59], v[14:15], v[66:67]
	;; [unrolled: 1-line block ×3, first 2 shown]
	global_wb scope:SCOPE_SE
	s_wait_dscnt 0x0
	s_barrier_signal -1
	s_barrier_wait -1
	global_inv scope:SCOPE_SE
	v_fma_f64 v[0:1], v[0:1], -0.5, v[8:9]
	v_add_f64_e64 v[8:9], v[24:25], -v[28:29]
	v_fma_f64 v[2:3], v[2:3], -0.5, v[10:11]
	v_add_f64_e64 v[10:11], v[26:27], -v[30:31]
	;; [unrolled: 2-line block ×3, first 2 shown]
	v_fma_f64 v[6:7], v[6:7], -0.5, v[14:15]
	v_add_f64_e32 v[40:41], v[40:41], v[18:19]
	v_add_f64_e32 v[42:43], v[42:43], v[22:23]
	v_add_f64_e32 v[58:59], v[58:59], v[64:65]
	v_add_f64_e32 v[44:45], v[36:37], v[44:45]
	v_add_nc_u32_e32 v28, 0x400, v87
	v_add_nc_u32_e32 v29, 0xc00, v87
	;; [unrolled: 1-line block ×6, first 2 shown]
	v_fma_f64 v[60:61], v[48:49], s[10:11], v[0:1]
	v_fma_f64 v[48:49], v[48:49], s[4:5], v[0:1]
	;; [unrolled: 1-line block ×8, first 2 shown]
	ds_load_2addr_b64 v[0:3], v87 offset1:126
	ds_load_2addr_b64 v[24:27], v28 offset0:124 offset1:250
	ds_load_2addr_b64 v[20:23], v29 offset0:120 offset1:246
	;; [unrolled: 1-line block ×6, first 2 shown]
	global_wb scope:SCOPE_SE
	s_wait_dscnt 0x0
	s_barrier_signal -1
	s_barrier_wait -1
	global_inv scope:SCOPE_SE
	ds_store_2addr_b64 v56, v[40:41], v[60:61] offset1:12
	ds_store_b64 v56, v[48:49] offset:192
	ds_store_2addr_b64 v57, v[42:43], v[62:63] offset1:12
	ds_store_b64 v57, v[64:65] offset:192
	;; [unrolled: 2-line block ×4, first 2 shown]
	s_and_saveexec_b32 s1, s0
	s_cbranch_execz .LBB0_29
; %bb.28:
	v_add_f64_e32 v[40:41], v[32:33], v[46:47]
	v_add_f64_e64 v[34:35], v[34:35], -v[38:39]
	v_add_f64_e32 v[32:33], v[50:51], v[32:33]
	s_mov_b32 s5, 0xbfebb67a
	s_mov_b32 s4, 0xe8584caa
	s_delay_alu instid0(VALU_DEP_3) | instskip(NEXT) | instid1(VALU_DEP_2)
	v_fma_f64 v[38:39], v[40:41], -0.5, v[50:51]
	v_add_f64_e32 v[32:33], v[32:33], v[46:47]
	s_wait_alu 0xfffe
	s_delay_alu instid0(VALU_DEP_2) | instskip(SKIP_4) | instid1(VALU_DEP_1)
	v_fma_f64 v[40:41], v[34:35], s[4:5], v[38:39]
	s_mov_b32 s5, 0x3febb67a
	s_wait_alu 0xfffe
	v_fma_f64 v[34:35], v[34:35], s[4:5], v[38:39]
	v_and_b32_e32 v38, 0xffff, v52
	v_lshlrev_b32_e32 v38, 3, v38
	s_delay_alu instid0(VALU_DEP_1)
	v_add3_u32 v38, 0, v53, v38
	ds_store_2addr_b64 v38, v[32:33], v[40:41] offset1:12
	ds_store_b64 v38, v[34:35] offset:192
.LBB0_29:
	s_wait_alu 0xfffe
	s_or_b32 exec_lo, exec_lo, s1
	v_mul_lo_u16 v32, v69, 57
	v_mul_lo_u16 v33, v68, 57
	global_wb scope:SCOPE_SE
	s_wait_dscnt 0x0
	s_barrier_signal -1
	s_barrier_wait -1
	v_lshrrev_b16 v32, 11, v32
	v_lshrrev_b16 v35, 11, v33
	global_inv scope:SCOPE_SE
	s_mov_b32 s10, 0x37e14327
	s_mov_b32 s20, 0xe976ee23
	v_mul_lo_u16 v34, v32, 36
	s_mov_b32 s11, 0x3fe948f6
	s_mov_b32 s24, 0x36b3c0b5
	;; [unrolled: 1-line block ×4, first 2 shown]
	v_sub_nc_u16 v33, v86, v34
	v_mul_lo_u16 v34, v35, 36
	s_mov_b32 s25, 0x3fac98ee
	s_mov_b32 s1, 0x3febfeb5
	;; [unrolled: 1-line block ×3, first 2 shown]
	v_and_b32_e32 v135, 0xff, v33
	v_sub_nc_u16 v33, v88, v34
	s_mov_b32 s22, 0xb247c609
	s_mov_b32 s5, 0xbff2aaaa
	;; [unrolled: 1-line block ×3, first 2 shown]
	v_mul_u32_u24_e32 v34, 6, v135
	v_and_b32_e32 v136, 0xff, v33
	s_mov_b32 s23, 0x3fd5d0dc
	s_mov_b32 s13, 0x3fe77f67
	;; [unrolled: 1-line block ×3, first 2 shown]
	v_lshlrev_b32_e32 v33, 4, v34
	v_mul_u32_u24_e32 v34, 6, v136
	s_mov_b32 s17, 0xbfd5d0dc
	s_mov_b32 s14, s12
	;; [unrolled: 1-line block ×3, first 2 shown]
	global_load_b128 v[38:41], v33, s[8:9] offset:544
	v_lshlrev_b32_e32 v34, 4, v34
	s_mov_b32 s18, 0x37c3f68c
	s_mov_b32 s19, 0x3fdc38aa
	s_clause 0xa
	global_load_b128 v[42:45], v33, s[8:9] offset:560
	global_load_b128 v[46:49], v34, s[8:9] offset:544
	;; [unrolled: 1-line block ×11, first 2 shown]
	ds_load_2addr_b64 v[97:100], v28 offset0:124 offset1:250
	ds_load_2addr_b64 v[101:104], v29 offset0:120 offset1:246
	;; [unrolled: 1-line block ×6, first 2 shown]
	v_and_b32_e32 v32, 0xffff, v32
	v_and_b32_e32 v35, 0xffff, v35
	s_delay_alu instid0(VALU_DEP_2) | instskip(NEXT) | instid1(VALU_DEP_2)
	v_mul_u32_u24_e32 v32, 0x7e0, v32
	v_mul_u32_u24_e32 v35, 0x7e0, v35
	s_wait_loadcnt_dscnt 0xa04
	v_mul_f64_e32 v[70:71], v[101:102], v[44:45]
	v_mul_f64_e32 v[44:45], v[20:21], v[44:45]
	s_wait_loadcnt 0x9
	v_mul_f64_e32 v[84:85], v[99:100], v[48:49]
	s_wait_loadcnt_dscnt 0x703
	v_mul_f64_e32 v[123:124], v[105:106], v[56:57]
	v_mul_f64_e32 v[121:122], v[103:104], v[52:53]
	;; [unrolled: 1-line block ×4, first 2 shown]
	s_wait_loadcnt_dscnt 0x502
	v_mul_f64_e32 v[127:128], v[109:110], v[64:65]
	v_mul_f64_e32 v[125:126], v[107:108], v[60:61]
	s_wait_loadcnt 0x4
	v_mul_f64_e32 v[129:130], v[111:112], v[68:69]
	v_mul_f64_e32 v[48:49], v[26:27], v[48:49]
	;; [unrolled: 1-line block ×4, first 2 shown]
	s_wait_loadcnt_dscnt 0x301
	v_mul_f64_e32 v[131:132], v[113:114], v[78:79]
	v_mul_f64_e32 v[78:79], v[8:9], v[78:79]
	s_wait_loadcnt_dscnt 0x200
	v_mul_f64_e32 v[133:134], v[117:118], v[82:83]
	v_fma_f64 v[20:21], v[20:21], v[42:43], -v[70:71]
	v_fma_f64 v[42:43], v[101:102], v[42:43], v[44:45]
	v_mul_f64_e32 v[44:45], v[16:17], v[56:57]
	v_mul_f64_e32 v[56:57], v[14:15], v[68:69]
	v_fma_f64 v[16:17], v[16:17], v[54:55], -v[123:124]
	v_fma_f64 v[24:25], v[24:25], v[38:39], -v[33:34]
	v_fma_f64 v[33:34], v[97:98], v[38:39], v[40:41]
	v_mul_f64_e32 v[40:41], v[12:13], v[64:65]
	v_mul_f64_e32 v[38:39], v[4:5], v[82:83]
	v_fma_f64 v[12:13], v[12:13], v[62:63], -v[127:128]
	v_fma_f64 v[26:27], v[26:27], v[46:47], -v[84:85]
	;; [unrolled: 1-line block ×3, first 2 shown]
	s_wait_loadcnt 0x1
	v_mul_f64_e32 v[64:65], v[115:116], v[91:92]
	v_fma_f64 v[18:19], v[18:19], v[58:59], -v[125:126]
	v_mul_f64_e32 v[68:69], v[10:11], v[91:92]
	s_wait_loadcnt 0x0
	v_mul_f64_e32 v[70:71], v[119:120], v[95:96]
	v_fma_f64 v[14:15], v[14:15], v[66:67], -v[129:130]
	v_mul_f64_e32 v[82:83], v[6:7], v[95:96]
	v_fma_f64 v[46:47], v[99:100], v[46:47], v[48:49]
	v_fma_f64 v[48:49], v[103:104], v[50:51], v[52:53]
	;; [unrolled: 1-line block ×3, first 2 shown]
	v_fma_f64 v[8:9], v[8:9], v[76:77], -v[131:132]
	v_fma_f64 v[4:5], v[4:5], v[80:81], -v[133:134]
	v_fma_f64 v[44:45], v[105:106], v[54:55], v[44:45]
	v_fma_f64 v[50:51], v[111:112], v[66:67], v[56:57]
	;; [unrolled: 1-line block ×3, first 2 shown]
	v_add_f64_e32 v[60:61], v[20:21], v[16:17]
	v_add_f64_e64 v[16:17], v[20:21], -v[16:17]
	v_fma_f64 v[40:41], v[109:110], v[62:63], v[40:41]
	v_fma_f64 v[38:39], v[117:118], v[80:81], v[38:39]
	v_add_f64_e32 v[58:59], v[24:25], v[12:13]
	v_add_f64_e64 v[12:13], v[24:25], -v[12:13]
	v_fma_f64 v[10:11], v[10:11], v[89:90], -v[64:65]
	v_add_f64_e32 v[66:67], v[22:23], v[18:19]
	v_fma_f64 v[56:57], v[115:116], v[89:90], v[68:69]
	v_fma_f64 v[6:7], v[6:7], v[93:94], -v[70:71]
	v_add_f64_e32 v[64:65], v[26:27], v[14:15]
	v_fma_f64 v[62:63], v[119:120], v[93:94], v[82:83]
	v_add_f64_e64 v[18:19], v[22:23], -v[18:19]
	v_add_f64_e64 v[14:15], v[26:27], -v[14:15]
	v_add_f64_e32 v[78:79], v[48:49], v[52:53]
	v_add_f64_e32 v[80:81], v[8:9], v[4:5]
	v_add_f64_e64 v[8:9], v[4:5], -v[8:9]
	v_add_f64_e32 v[70:71], v[42:43], v[44:45]
	v_add_f64_e32 v[76:77], v[46:47], v[50:51]
	v_add_f64_e64 v[42:43], v[42:43], -v[44:45]
	v_add_f64_e64 v[46:47], v[46:47], -v[50:51]
	v_add_f64_e32 v[68:69], v[33:34], v[40:41]
	v_add_f64_e64 v[44:45], v[38:39], -v[54:55]
	v_add_f64_e64 v[33:34], v[33:34], -v[40:41]
	;; [unrolled: 1-line block ×3, first 2 shown]
	v_add_f64_e32 v[48:49], v[60:61], v[58:59]
	v_add_f64_e32 v[38:39], v[54:55], v[38:39]
	v_add_f64_e64 v[95:96], v[16:17], -v[12:13]
	v_add_f64_e32 v[52:53], v[10:11], v[6:7]
	v_add_f64_e32 v[50:51], v[66:67], v[64:65]
	v_add_f64_e64 v[82:83], v[62:63], -v[56:57]
	v_add_f64_e32 v[22:23], v[56:57], v[62:63]
	v_add_f64_e64 v[10:11], v[6:7], -v[10:11]
	v_add_f64_e64 v[101:102], v[18:19], -v[14:15]
	ds_load_2addr_b64 v[4:7], v87 offset1:126
	v_add_f64_e64 v[26:27], v[58:59], -v[80:81]
	v_add_f64_e64 v[54:55], v[80:81], -v[60:61]
	v_add_f64_e64 v[58:59], v[60:61], -v[58:59]
	v_add_f64_e64 v[93:94], v[8:9], -v[16:17]
	v_add_f64_e32 v[16:17], v[8:9], v[16:17]
	v_add_f64_e64 v[8:9], v[12:13], -v[8:9]
	global_wb scope:SCOPE_SE
	s_wait_dscnt 0x0
	s_barrier_signal -1
	s_barrier_wait -1
	global_inv scope:SCOPE_SE
	v_add_f64_e32 v[24:25], v[78:79], v[76:77]
	v_add_f64_e32 v[20:21], v[70:71], v[68:69]
	v_add_f64_e64 v[56:57], v[44:45], -v[42:43]
	v_add_f64_e64 v[62:63], v[42:43], -v[33:34]
	;; [unrolled: 1-line block ×3, first 2 shown]
	v_add_f64_e32 v[48:49], v[80:81], v[48:49]
	v_add_f64_e64 v[60:61], v[68:69], -v[38:39]
	v_add_f64_e64 v[91:92], v[38:39], -v[70:71]
	v_add_f64_e32 v[42:43], v[44:45], v[42:43]
	v_add_f64_e64 v[80:81], v[64:65], -v[52:53]
	v_add_f64_e32 v[50:51], v[52:53], v[50:51]
	v_add_f64_e64 v[84:85], v[82:83], -v[40:41]
	v_add_f64_e64 v[52:53], v[52:53], -v[66:67]
	;; [unrolled: 1-line block ×8, first 2 shown]
	v_add_f64_e32 v[18:19], v[10:11], v[18:19]
	s_wait_alu 0xfffe
	v_mul_f64_e32 v[78:79], s[20:21], v[93:94]
	v_add_f64_e64 v[10:11], v[14:15], -v[10:11]
	v_add_f64_e32 v[12:13], v[16:17], v[12:13]
	v_add_f64_e32 v[20:21], v[38:39], v[20:21]
	;; [unrolled: 1-line block ×3, first 2 shown]
	v_add_f64_e64 v[40:41], v[76:77], -v[22:23]
	v_add_f64_e32 v[22:23], v[22:23], v[24:25]
	v_mul_f64_e32 v[24:25], s[10:11], v[26:27]
	v_mul_f64_e32 v[56:57], s[20:21], v[56:57]
	v_add_f64_e32 v[0:1], v[0:1], v[48:49]
	v_mul_f64_e32 v[26:27], s[24:25], v[54:55]
	v_mul_f64_e32 v[103:104], s[0:1], v[62:63]
	v_add_f64_e64 v[82:83], v[46:47], -v[82:83]
	v_mul_f64_e32 v[80:81], s[10:11], v[80:81]
	v_mul_f64_e32 v[84:85], s[20:21], v[84:85]
	v_add_f64_e32 v[2:3], v[2:3], v[50:51]
	v_mul_f64_e32 v[105:106], s[0:1], v[89:90]
	v_mul_f64_e32 v[66:67], s[24:25], v[52:53]
	;; [unrolled: 1-line block ×4, first 2 shown]
	v_add_f64_e32 v[33:34], v[42:43], v[33:34]
	v_mul_f64_e32 v[42:43], s[0:1], v[95:96]
	v_add_f64_e32 v[14:15], v[18:19], v[14:15]
	v_add_f64_e32 v[93:94], v[4:5], v[20:21]
	;; [unrolled: 1-line block ×3, first 2 shown]
	v_mul_f64_e32 v[38:39], s[10:11], v[40:41]
	v_mul_f64_e32 v[40:41], s[20:21], v[97:98]
	;; [unrolled: 1-line block ×3, first 2 shown]
	v_add_f64_e32 v[107:108], v[6:7], v[22:23]
	v_mul_f64_e32 v[46:47], s[24:25], v[99:100]
	v_fma_f64 v[6:7], v[54:55], s[24:25], v[24:25]
	v_fma_f64 v[54:55], v[44:45], s[22:23], v[56:57]
	;; [unrolled: 1-line block ×3, first 2 shown]
	v_fma_f64 v[26:27], v[58:59], s[12:13], -v[26:27]
	v_fma_f64 v[56:57], v[62:63], s[0:1], -v[56:57]
	;; [unrolled: 1-line block ×4, first 2 shown]
	v_fma_f64 v[52:53], v[52:53], s[24:25], v[80:81]
	v_fma_f64 v[58:59], v[82:83], s[22:23], v[84:85]
	v_fma_f64 v[50:51], v[50:51], s[4:5], v[2:3]
	v_fma_f64 v[62:63], v[89:90], s[0:1], -v[84:85]
	v_fma_f64 v[82:83], v[82:83], s[16:17], -v[105:106]
	v_fma_f64 v[80:81], v[64:65], s[14:15], -v[80:81]
	v_fma_f64 v[64:65], v[64:65], s[12:13], -v[66:67]
	v_fma_f64 v[16:17], v[91:92], s[24:25], v[60:61]
	v_fma_f64 v[18:19], v[68:69], s[12:13], -v[76:77]
	v_fma_f64 v[66:67], v[8:9], s[22:23], v[78:79]
	v_fma_f64 v[76:77], v[95:96], s[0:1], -v[78:79]
	v_fma_f64 v[8:9], v[8:9], s[16:17], -v[42:43]
	v_fma_f64 v[42:43], v[68:69], s[14:15], -v[60:61]
	v_fma_f64 v[20:21], v[20:21], s[4:5], v[93:94]
	v_fma_f64 v[60:61], v[99:100], s[24:25], v[38:39]
	;; [unrolled: 1-line block ×3, first 2 shown]
	v_fma_f64 v[40:41], v[101:102], s[0:1], -v[40:41]
	v_fma_f64 v[10:11], v[10:11], s[16:17], -v[97:98]
	v_fma_f64 v[22:23], v[22:23], s[4:5], v[107:108]
	v_fma_f64 v[38:39], v[70:71], s[14:15], -v[38:39]
	v_fma_f64 v[46:47], v[70:71], s[12:13], -v[46:47]
	v_fma_f64 v[54:55], v[33:34], s[18:19], v[54:55]
	v_add_f64_e32 v[6:7], v[6:7], v[48:49]
	v_fma_f64 v[56:57], v[33:34], s[18:19], v[56:57]
	v_fma_f64 v[33:34], v[33:34], s[18:19], v[44:45]
	v_add_f64_e32 v[24:25], v[24:25], v[48:49]
	v_add_f64_e32 v[26:27], v[26:27], v[48:49]
	v_fma_f64 v[44:45], v[4:5], s[18:19], v[58:59]
	v_add_f64_e32 v[52:53], v[52:53], v[50:51]
	v_fma_f64 v[48:49], v[4:5], s[18:19], v[62:63]
	v_fma_f64 v[4:5], v[4:5], s[18:19], v[82:83]
	v_add_f64_e32 v[58:59], v[80:81], v[50:51]
	v_add_f64_e32 v[50:51], v[64:65], v[50:51]
	v_fma_f64 v[62:63], v[12:13], s[18:19], v[66:67]
	v_fma_f64 v[64:65], v[12:13], s[18:19], v[76:77]
	;; [unrolled: 1-line block ×3, first 2 shown]
	v_add_f64_e32 v[12:13], v[16:17], v[20:21]
	v_add_f64_e32 v[16:17], v[42:43], v[20:21]
	;; [unrolled: 1-line block ×3, first 2 shown]
	v_fma_f64 v[20:21], v[14:15], s[18:19], v[68:69]
	v_fma_f64 v[40:41], v[14:15], s[18:19], v[40:41]
	v_fma_f64 v[10:11], v[14:15], s[18:19], v[10:11]
	v_add_f64_e32 v[14:15], v[60:61], v[22:23]
	v_add_f64_e32 v[38:39], v[38:39], v[22:23]
	;; [unrolled: 1-line block ×4, first 2 shown]
	v_add_f64_e64 v[6:7], v[6:7], -v[54:55]
	v_add_f64_e32 v[46:47], v[33:34], v[24:25]
	v_add_f64_e64 v[60:61], v[26:27], -v[56:57]
	v_add_f64_e32 v[26:27], v[56:57], v[26:27]
	;; [unrolled: 2-line block ×5, first 2 shown]
	v_add_f64_e64 v[4:5], v[58:59], -v[4:5]
	v_lshlrev_b32_e32 v50, 3, v135
	v_lshlrev_b32_e32 v51, 3, v136
	s_delay_alu instid0(VALU_DEP_2) | instskip(NEXT) | instid1(VALU_DEP_2)
	v_add3_u32 v32, 0, v32, v50
	v_add3_u32 v35, 0, v35, v51
	ds_store_2addr_b64 v32, v[0:1], v[42:43] offset1:36
	ds_store_2addr_b64 v32, v[46:47], v[60:61] offset0:72 offset1:108
	ds_store_2addr_b64 v32, v[26:27], v[24:25] offset0:144 offset1:180
	ds_store_b64 v32, v[6:7] offset:1728
	ds_store_2addr_b64 v35, v[2:3], v[33:34] offset1:36
	ds_store_2addr_b64 v35, v[54:55], v[56:57] offset0:72 offset1:108
	ds_store_2addr_b64 v35, v[48:49], v[4:5] offset0:144 offset1:180
	ds_store_b64 v35, v[44:45] offset:1728
	v_add_f64_e64 v[50:51], v[12:13], -v[62:63]
	v_add_f64_e64 v[52:53], v[16:17], -v[8:9]
	v_add_f64_e32 v[58:59], v[64:65], v[18:19]
	v_add_f64_e64 v[64:65], v[18:19], -v[64:65]
	v_add_f64_e32 v[66:67], v[8:9], v[16:17]
	v_add_f64_e32 v[62:63], v[62:63], v[12:13]
	v_add_f64_e64 v[68:69], v[14:15], -v[20:21]
	v_add_f64_e64 v[70:71], v[38:39], -v[10:11]
	v_add_f64_e32 v[76:77], v[40:41], v[22:23]
	v_add_f64_e64 v[40:41], v[22:23], -v[40:41]
	v_add_f64_e32 v[38:39], v[10:11], v[38:39]
	v_add_f64_e32 v[78:79], v[20:21], v[14:15]
	global_wb scope:SCOPE_SE
	s_wait_dscnt 0x0
	s_barrier_signal -1
	s_barrier_wait -1
	global_inv scope:SCOPE_SE
	ds_load_2addr_b64 v[0:3], v87 offset1:126
	ds_load_2addr_b64 v[16:19], v28 offset0:124 offset1:250
	ds_load_2addr_b64 v[12:15], v29 offset0:120 offset1:246
	;; [unrolled: 1-line block ×6, first 2 shown]
	global_wb scope:SCOPE_SE
	s_wait_dscnt 0x0
	s_barrier_signal -1
	s_barrier_wait -1
	global_inv scope:SCOPE_SE
	ds_store_2addr_b64 v32, v[93:94], v[50:51] offset1:36
	ds_store_2addr_b64 v32, v[52:53], v[58:59] offset0:72 offset1:108
	ds_store_2addr_b64 v32, v[64:65], v[66:67] offset0:144 offset1:180
	ds_store_b64 v32, v[62:63] offset:1728
	ds_store_2addr_b64 v35, v[107:108], v[68:69] offset1:36
	ds_store_2addr_b64 v35, v[70:71], v[76:77] offset0:72 offset1:108
	ds_store_2addr_b64 v35, v[40:41], v[38:39] offset0:144 offset1:180
	ds_store_b64 v35, v[78:79] offset:1728
	global_wb scope:SCOPE_SE
	s_wait_dscnt 0x0
	s_barrier_signal -1
	s_barrier_wait -1
	global_inv scope:SCOPE_SE
	s_and_saveexec_b32 s26, vcc_lo
	s_cbranch_execz .LBB0_31
; %bb.30:
	v_mul_u32_u24_e32 v28, 6, v88
	v_mul_u32_u24_e32 v40, 6, v86
	v_add_nc_u32_e32 v84, 0x400, v87
	v_add_nc_u32_e32 v80, 0x2c00, v87
	;; [unrolled: 1-line block ×3, first 2 shown]
	v_lshlrev_b32_e32 v64, 4, v28
	v_lshlrev_b32_e32 v76, 4, v40
	v_add_nc_u32_e32 v100, 0x1400, v87
	v_lshlrev_b64_e32 v[72:73], 4, v[72:73]
	s_clause 0xb
	global_load_b128 v[28:31], v64, s[8:9] offset:4080
	global_load_b128 v[32:35], v64, s[8:9] offset:4000
	;; [unrolled: 1-line block ×12, first 2 shown]
	ds_load_2addr_b64 v[88:91], v84 offset0:124 offset1:250
	v_add_nc_u32_e32 v84, 0x2400, v87
	ds_load_2addr_b64 v[80:83], v80 offset0:104 offset1:230
	ds_load_2addr_b64 v[92:95], v85 offset0:120 offset1:246
	;; [unrolled: 1-line block ×3, first 2 shown]
	s_wait_loadcnt_dscnt 0x800
	v_mul_f64_e32 v[110:111], v[40:41], v[98:99]
	v_mul_f64_e32 v[112:113], v[42:43], v[98:99]
	s_wait_loadcnt 0x7
	v_mul_f64_e32 v[114:115], v[24:25], v[46:47]
	s_wait_loadcnt 0x6
	;; [unrolled: 2-line block ×3, first 2 shown]
	v_mul_f64_e32 v[118:119], v[20:21], v[54:55]
	v_mul_f64_e32 v[102:103], v[30:31], v[82:83]
	;; [unrolled: 1-line block ×7, first 2 shown]
	s_wait_loadcnt 0x4
	v_mul_f64_e32 v[120:121], v[12:13], v[58:59]
	v_mul_f64_e32 v[50:51], v[88:89], v[50:51]
	;; [unrolled: 1-line block ×5, first 2 shown]
	v_add_nc_u32_e32 v82, 0x1c00, v87
	ds_load_2addr_b64 v[98:101], v100 offset0:116 offset1:242
	ds_load_2addr_b64 v[82:85], v82 offset0:112 offset1:238
	v_fma_f64 v[42:43], v[22:23], v[42:43], v[110:111]
	v_fma_f64 v[22:23], v[22:23], v[40:41], -v[112:113]
	s_wait_loadcnt 0x1
	v_mul_f64_e32 v[40:41], v[8:9], v[70:71]
	s_wait_dscnt 0x0
	v_mul_f64_e32 v[122:123], v[62:63], v[84:85]
	v_fma_f64 v[28:29], v[26:27], v[28:29], -v[102:103]
	v_fma_f64 v[26:27], v[26:27], v[30:31], v[104:105]
	v_mul_f64_e32 v[30:31], v[66:67], v[100:101]
	v_mul_f64_e32 v[100:101], v[64:65], v[100:101]
	v_fma_f64 v[18:19], v[18:19], v[32:33], -v[106:107]
	v_fma_f64 v[32:33], v[32:33], v[90:91], v[34:35]
	v_mul_f64_e32 v[34:35], v[60:61], v[84:85]
	v_mul_f64_e32 v[84:85], v[82:83], v[70:71]
	v_fma_f64 v[14:15], v[14:15], v[36:37], -v[108:109]
	v_fma_f64 v[36:37], v[36:37], v[94:95], v[38:39]
	s_wait_loadcnt 0x0
	v_mul_f64_e32 v[38:39], v[98:99], v[78:79]
	v_mul_f64_e32 v[78:79], v[4:5], v[78:79]
	v_fma_f64 v[70:71], v[44:45], v[80:81], v[114:115]
	v_fma_f64 v[80:81], v[48:49], v[88:89], v[116:117]
	;; [unrolled: 1-line block ×4, first 2 shown]
	v_fma_f64 v[16:17], v[16:17], v[48:49], -v[50:51]
	v_fma_f64 v[24:25], v[24:25], v[44:45], -v[46:47]
	;; [unrolled: 1-line block ×4, first 2 shown]
	v_add_nc_u32_e32 v103, 0x7e, v86
	v_mul_lo_u32 v102, s3, v74
	v_mul_lo_u32 v104, s2, v75
	v_mad_co_u64_u32 v[74:75], null, s2, v74, 0
	s_delay_alu instid0(VALU_DEP_1) | instskip(SKIP_2) | instid1(VALU_DEP_3)
	v_add3_u32 v75, v75, v104, v102
	v_fma_f64 v[40:41], v[68:69], v[82:83], v[40:41]
	v_fma_f64 v[44:45], v[10:11], v[60:61], -v[122:123]
	v_lshlrev_b64_e32 v[74:75], 4, v[74:75]
	v_fma_f64 v[30:31], v[6:7], v[64:65], -v[30:31]
	v_fma_f64 v[6:7], v[6:7], v[66:67], v[100:101]
	v_add_f64_e32 v[48:49], v[18:19], v[28:29]
	v_add_f64_e64 v[18:19], v[18:19], -v[28:29]
	v_fma_f64 v[10:11], v[10:11], v[62:63], v[34:35]
	v_fma_f64 v[8:9], v[8:9], v[68:69], -v[84:85]
	v_add_f64_e32 v[50:51], v[14:15], v[22:23]
	v_add_f64_e32 v[46:47], v[36:37], v[42:43]
	v_fma_f64 v[4:5], v[4:5], v[76:77], -v[38:39]
	v_fma_f64 v[34:35], v[76:77], v[98:99], v[78:79]
	v_add_f64_e32 v[38:39], v[32:33], v[26:27]
	v_add_f64_e32 v[52:53], v[80:81], v[70:71]
	v_add_f64_e64 v[14:15], v[14:15], -v[22:23]
	v_add_f64_e32 v[54:55], v[90:91], v[88:89]
	v_add_f64_e64 v[36:37], v[36:37], -v[42:43]
	v_add_f64_e32 v[56:57], v[16:17], v[24:25]
	v_add_f64_e64 v[16:17], v[16:17], -v[24:25]
	v_add_f64_e32 v[58:59], v[12:13], v[20:21]
	v_add_f64_e64 v[12:13], v[12:13], -v[20:21]
	v_add_f64_e64 v[26:27], v[32:33], -v[26:27]
	v_add_f64_e64 v[60:61], v[44:45], -v[30:31]
	v_add_f64_e32 v[30:31], v[44:45], v[30:31]
	v_add_f64_e32 v[22:23], v[10:11], v[6:7]
	v_add_f64_e64 v[10:11], v[10:11], -v[6:7]
	v_add_f64_e32 v[20:21], v[48:49], v[50:51]
	v_add_f64_e64 v[28:29], v[8:9], -v[4:5]
	v_add_f64_e32 v[42:43], v[40:41], v[34:35]
	v_add_f64_e32 v[6:7], v[38:39], v[46:47]
	;; [unrolled: 1-line block ×3, first 2 shown]
	v_add_f64_e64 v[24:25], v[40:41], -v[34:35]
	v_add_f64_e32 v[8:9], v[52:53], v[54:55]
	v_add_f64_e64 v[34:35], v[90:91], -v[88:89]
	v_add_f64_e64 v[40:41], v[80:81], -v[70:71]
	;; [unrolled: 1-line block ×3, first 2 shown]
	v_add_f64_e32 v[44:45], v[56:57], v[58:59]
	v_add_f64_e64 v[82:83], v[12:13], -v[16:17]
	v_add_f64_e64 v[94:95], v[36:37], -v[26:27]
	;; [unrolled: 1-line block ×5, first 2 shown]
	v_add_f64_e32 v[14:15], v[60:61], v[14:15]
	v_add_f64_e64 v[62:63], v[22:23], -v[46:47]
	v_add_f64_e64 v[66:67], v[10:11], -v[36:37]
	;; [unrolled: 1-line block ×3, first 2 shown]
	v_add_f64_e32 v[20:21], v[30:31], v[20:21]
	v_add_f64_e64 v[76:77], v[28:29], -v[12:13]
	v_add_f64_e64 v[78:79], v[42:43], -v[54:55]
	v_add_f64_e32 v[22:23], v[22:23], v[6:7]
	v_add_f64_e64 v[80:81], v[4:5], -v[58:59]
	v_add_f64_e64 v[92:93], v[56:57], -v[4:5]
	;; [unrolled: 3-line block ×3, first 2 shown]
	v_add_f64_e64 v[90:91], v[34:35], -v[40:41]
	v_add_f64_e32 v[44:45], v[4:5], v[44:45]
	v_add_f64_e64 v[30:31], v[48:49], -v[30:31]
	v_lshrrev_b32_e32 v6, 2, v103
	v_lshrrev_b32_e32 v9, 2, v86
	v_add_f64_e64 v[60:61], v[26:27], -v[10:11]
	v_add_f64_e32 v[10:11], v[10:11], v[36:37]
	v_add_f64_e64 v[36:37], v[46:47], -v[38:39]
	v_mul_hi_u32 v8, 0x20820821, v6
	ds_load_2addr_b64 v[4:7], v87 offset1:126
	v_mul_hi_u32 v105, 0x20820821, v9
	v_add_f64_e32 v[12:13], v[28:29], v[12:13]
	v_add_f64_e32 v[34:35], v[24:25], v[34:35]
	v_add_f64_e64 v[28:29], v[16:17], -v[28:29]
	v_add_f64_e64 v[52:53], v[54:55], -v[52:53]
	;; [unrolled: 1-line block ×3, first 2 shown]
	v_lshrrev_b32_e32 v106, 3, v8
	v_mul_f64_e32 v[98:99], s[0:1], v[82:83]
	v_add_f64_e64 v[56:57], v[58:59], -v[56:57]
	v_add_f64_e64 v[48:49], v[50:51], -v[48:49]
	v_mul_f64_e32 v[100:101], s[0:1], v[94:95]
	v_mul_lo_u32 v107, 0xfc, v106
	v_mul_f64_e32 v[32:33], s[20:21], v[32:33]
	v_mul_f64_e32 v[46:47], s[24:25], v[64:65]
	;; [unrolled: 1-line block ×3, first 2 shown]
	v_add_f64_e32 v[14:15], v[18:19], v[14:15]
	v_mul_f64_e32 v[38:39], s[24:25], v[62:63]
	v_mul_f64_e32 v[62:63], s[20:21], v[66:67]
	;; [unrolled: 1-line block ×3, first 2 shown]
	v_lshrrev_b32_e32 v102, 3, v105
	v_mul_f64_e32 v[76:77], s[20:21], v[76:77]
	v_mul_f64_e32 v[78:79], s[24:25], v[78:79]
	s_wait_dscnt 0x0
	v_add_f64_e32 v[8:9], v[6:7], v[22:23]
	v_add_f64_e32 v[6:7], v[2:3], v[20:21]
	v_mul_f64_e32 v[80:81], s[24:25], v[80:81]
	v_add_f64_e32 v[2:3], v[4:5], v[84:85]
	v_mul_f64_e32 v[4:5], s[10:11], v[42:43]
	v_mul_f64_e32 v[54:55], s[20:21], v[88:89]
	;; [unrolled: 1-line block ×3, first 2 shown]
	v_add_f64_e32 v[0:1], v[0:1], v[44:45]
	v_mul_f64_e32 v[58:59], s[10:11], v[92:93]
	v_mul_f64_e32 v[50:51], s[10:11], v[30:31]
	v_mul_lo_u32 v104, 0xfc, v102
	v_sub_nc_u32_e32 v102, v103, v107
	v_add_f64_e32 v[10:11], v[26:27], v[10:11]
	v_mov_b32_e32 v89, 0
	v_add_f64_e32 v[12:13], v[16:17], v[12:13]
	v_add_f64_e32 v[16:17], v[40:41], v[34:35]
	v_fma_f64 v[18:19], v[96:97], s[22:23], v[32:33]
	v_fma_f64 v[32:33], v[68:69], s[0:1], -v[32:33]
	v_fma_f64 v[40:41], v[96:97], s[16:17], -v[64:65]
	v_fma_f64 v[30:31], v[30:31], s[10:11], v[46:47]
	v_fma_f64 v[26:27], v[70:71], s[10:11], v[38:39]
	;; [unrolled: 1-line block ×3, first 2 shown]
	v_fma_f64 v[64:65], v[36:37], s[14:15], -v[66:67]
	v_fma_f64 v[36:37], v[36:37], s[12:13], -v[38:39]
	v_fma_f64 v[38:39], v[28:29], s[22:23], v[76:77]
	v_fma_f64 v[42:43], v[42:43], s[10:11], v[78:79]
	v_fma_f64 v[68:69], v[82:83], s[0:1], -v[76:77]
	v_fma_f64 v[22:23], v[22:23], s[4:5], v[8:9]
	v_fma_f64 v[66:67], v[92:93], s[10:11], v[80:81]
	;; [unrolled: 1-line block ×3, first 2 shown]
	v_fma_f64 v[4:5], v[52:53], s[14:15], -v[4:5]
	v_fma_f64 v[52:53], v[52:53], s[12:13], -v[78:79]
	v_fma_f64 v[76:77], v[24:25], s[22:23], v[54:55]
	v_fma_f64 v[44:45], v[44:45], s[4:5], v[0:1]
	;; [unrolled: 1-line block ×3, first 2 shown]
	v_fma_f64 v[28:29], v[28:29], s[16:17], -v[98:99]
	v_fma_f64 v[24:25], v[24:25], s[16:17], -v[87:88]
	;; [unrolled: 1-line block ×9, first 2 shown]
	v_add_co_u32 v48, vcc_lo, s6, v74
	s_wait_alu 0xfffd
	v_add_co_ci_u32_e32 v49, vcc_lo, s7, v75, vcc_lo
	v_mad_co_u64_u32 v[74:75], null, 0x6e4, v106, v[102:103]
	v_mov_b32_e32 v75, v89
	v_sub_nc_u32_e32 v78, v86, v104
	v_add_co_u32 v96, vcc_lo, v48, v72
	s_wait_alu 0xfffd
	v_add_co_ci_u32_e32 v97, vcc_lo, v49, v73, vcc_lo
	s_delay_alu instid0(VALU_DEP_3)
	v_lshlrev_b32_e32 v84, 4, v78
	v_lshlrev_b64_e32 v[48:49], 4, v[74:75]
	v_fma_f64 v[18:19], v[14:15], s[18:19], v[18:19]
	v_fma_f64 v[72:73], v[10:11], s[18:19], v[34:35]
	;; [unrolled: 1-line block ×5, first 2 shown]
	v_add_co_u32 v84, vcc_lo, v96, v84
	v_fma_f64 v[68:69], v[12:13], s[18:19], v[68:69]
	v_add_f64_e32 v[26:27], v[26:27], v[22:23]
	v_add_f64_e32 v[42:43], v[42:43], v[70:71]
	;; [unrolled: 1-line block ×4, first 2 shown]
	v_fma_f64 v[70:71], v[16:17], s[18:19], v[76:77]
	v_add_f64_e32 v[66:67], v[66:67], v[44:45]
	v_add_f64_e32 v[78:79], v[30:31], v[20:21]
	v_add_f64_e32 v[30:31], v[64:65], v[22:23]
	v_fma_f64 v[64:65], v[12:13], s[18:19], v[28:29]
	v_fma_f64 v[75:76], v[16:17], s[18:19], v[24:25]
	v_add_f64_e32 v[58:59], v[58:59], v[44:45]
	v_fma_f64 v[54:55], v[16:17], s[18:19], v[54:55]
	v_add_f64_e32 v[56:57], v[56:57], v[44:45]
	v_fma_f64 v[60:61], v[10:11], s[18:19], v[60:61]
	v_add_f64_e32 v[80:81], v[50:51], v[20:21]
	v_add_f64_e32 v[22:23], v[36:37], v[22:23]
	v_fma_f64 v[62:63], v[10:11], s[18:19], v[62:63]
	v_add_f64_e32 v[82:83], v[46:47], v[20:21]
	s_wait_alu 0xfffd
	v_add_co_ci_u32_e32 v85, vcc_lo, 0, v97, vcc_lo
	v_add_nc_u32_e32 v88, 0xfc, v74
	v_add_co_u32 v86, vcc_lo, v96, v48
	s_wait_alu 0xfffd
	v_add_co_ci_u32_e32 v87, vcc_lo, v97, v49, vcc_lo
	s_delay_alu instid0(VALU_DEP_3) | instskip(SKIP_1) | instid1(VALU_DEP_1)
	v_lshlrev_b64_e32 v[10:11], 4, v[88:89]
	v_add_nc_u32_e32 v88, 0x1f8, v74
	v_lshlrev_b64_e32 v[90:91], 4, v[88:89]
	v_add_nc_u32_e32 v88, 0x2f4, v74
	s_delay_alu instid0(VALU_DEP_4) | instskip(SKIP_2) | instid1(VALU_DEP_3)
	v_add_co_u32 v92, vcc_lo, v96, v10
	s_wait_alu 0xfffd
	v_add_co_ci_u32_e32 v93, vcc_lo, v97, v11, vcc_lo
	v_lshlrev_b64_e32 v[94:95], 4, v[88:89]
	v_add_f64_e32 v[12:13], v[18:19], v[26:27]
	v_add_f64_e32 v[32:33], v[38:39], v[42:43]
	v_add_nc_u32_e32 v88, 0x3f0, v74
	v_add_f64_e64 v[40:41], v[52:53], -v[68:69]
	v_add_f64_e32 v[44:45], v[68:69], v[52:53]
	v_add_f64_e64 v[52:53], v[42:43], -v[38:39]
	v_add_f64_e32 v[50:51], v[70:71], v[66:67]
	v_add_f64_e32 v[16:17], v[34:35], v[30:31]
	v_add_f64_e64 v[48:49], v[4:5], -v[64:65]
	v_add_f64_e64 v[28:29], v[30:31], -v[34:35]
	v_add_f64_e32 v[46:47], v[75:76], v[58:59]
	v_add_f64_e32 v[36:37], v[64:65], v[4:5]
	v_add_f64_e64 v[42:43], v[56:57], -v[54:55]
	v_add_f64_e32 v[38:39], v[54:55], v[56:57]
	v_add_f64_e64 v[34:35], v[58:59], -v[75:76]
	v_add_f64_e64 v[30:31], v[66:67], -v[70:71]
	;; [unrolled: 1-line block ×3, first 2 shown]
	v_add_f64_e32 v[54:55], v[72:73], v[78:79]
	v_add_f64_e32 v[26:27], v[60:61], v[80:81]
	v_add_f64_e64 v[20:21], v[22:23], -v[14:15]
	v_add_f64_e32 v[24:25], v[14:15], v[22:23]
	v_add_f64_e64 v[22:23], v[82:83], -v[62:63]
	v_add_f64_e32 v[18:19], v[62:63], v[82:83]
	v_add_f64_e64 v[14:15], v[80:81], -v[60:61]
	v_add_f64_e64 v[10:11], v[78:79], -v[72:73]
	v_lshlrev_b64_e32 v[58:59], 4, v[88:89]
	v_add_nc_u32_e32 v88, 0x4ec, v74
	v_add_co_u32 v4, vcc_lo, v96, v90
	s_wait_alu 0xfffd
	v_add_co_ci_u32_e32 v5, vcc_lo, v97, v91, vcc_lo
	s_delay_alu instid0(VALU_DEP_3)
	v_lshlrev_b64_e32 v[62:63], 4, v[88:89]
	v_add_nc_u32_e32 v88, 0x5e8, v74
	v_add_co_u32 v60, vcc_lo, v96, v94
	s_wait_alu 0xfffd
	v_add_co_ci_u32_e32 v61, vcc_lo, v97, v95, vcc_lo
	v_add_co_u32 v58, vcc_lo, v96, v58
	v_lshlrev_b64_e32 v[64:65], 4, v[88:89]
	s_wait_alu 0xfffd
	v_add_co_ci_u32_e32 v59, vcc_lo, v97, v59, vcc_lo
	v_add_co_u32 v62, vcc_lo, v96, v62
	s_wait_alu 0xfffd
	v_add_co_ci_u32_e32 v63, vcc_lo, v97, v63, vcc_lo
	v_add_co_u32 v64, vcc_lo, v96, v64
	s_wait_alu 0xfffd
	v_add_co_ci_u32_e32 v65, vcc_lo, v97, v65, vcc_lo
	s_clause 0xd
	global_store_b128 v[84:85], v[0:3], off
	global_store_b128 v[84:85], v[50:53], off offset:4032
	global_store_b128 v[84:85], v[46:49], off offset:8064
	;; [unrolled: 1-line block ×6, first 2 shown]
	global_store_b128 v[86:87], v[6:9], off
	global_store_b128 v[92:93], v[54:57], off
	;; [unrolled: 1-line block ×7, first 2 shown]
.LBB0_31:
	s_nop 0
	s_sendmsg sendmsg(MSG_DEALLOC_VGPRS)
	s_endpgm
	.section	.rodata,"a",@progbits
	.p2align	6, 0x0
	.amdhsa_kernel fft_rtc_fwd_len1764_factors_2_2_3_3_7_7_wgs_126_tpt_126_halfLds_dp_op_CI_CI_unitstride_sbrr_dirReg
		.amdhsa_group_segment_fixed_size 0
		.amdhsa_private_segment_fixed_size 0
		.amdhsa_kernarg_size 104
		.amdhsa_user_sgpr_count 2
		.amdhsa_user_sgpr_dispatch_ptr 0
		.amdhsa_user_sgpr_queue_ptr 0
		.amdhsa_user_sgpr_kernarg_segment_ptr 1
		.amdhsa_user_sgpr_dispatch_id 0
		.amdhsa_user_sgpr_private_segment_size 0
		.amdhsa_wavefront_size32 1
		.amdhsa_uses_dynamic_stack 0
		.amdhsa_enable_private_segment 0
		.amdhsa_system_sgpr_workgroup_id_x 1
		.amdhsa_system_sgpr_workgroup_id_y 0
		.amdhsa_system_sgpr_workgroup_id_z 0
		.amdhsa_system_sgpr_workgroup_info 0
		.amdhsa_system_vgpr_workitem_id 0
		.amdhsa_next_free_vgpr 137
		.amdhsa_next_free_sgpr 39
		.amdhsa_reserve_vcc 1
		.amdhsa_float_round_mode_32 0
		.amdhsa_float_round_mode_16_64 0
		.amdhsa_float_denorm_mode_32 3
		.amdhsa_float_denorm_mode_16_64 3
		.amdhsa_fp16_overflow 0
		.amdhsa_workgroup_processor_mode 1
		.amdhsa_memory_ordered 1
		.amdhsa_forward_progress 0
		.amdhsa_round_robin_scheduling 0
		.amdhsa_exception_fp_ieee_invalid_op 0
		.amdhsa_exception_fp_denorm_src 0
		.amdhsa_exception_fp_ieee_div_zero 0
		.amdhsa_exception_fp_ieee_overflow 0
		.amdhsa_exception_fp_ieee_underflow 0
		.amdhsa_exception_fp_ieee_inexact 0
		.amdhsa_exception_int_div_zero 0
	.end_amdhsa_kernel
	.text
.Lfunc_end0:
	.size	fft_rtc_fwd_len1764_factors_2_2_3_3_7_7_wgs_126_tpt_126_halfLds_dp_op_CI_CI_unitstride_sbrr_dirReg, .Lfunc_end0-fft_rtc_fwd_len1764_factors_2_2_3_3_7_7_wgs_126_tpt_126_halfLds_dp_op_CI_CI_unitstride_sbrr_dirReg
                                        ; -- End function
	.section	.AMDGPU.csdata,"",@progbits
; Kernel info:
; codeLenInByte = 11204
; NumSgprs: 41
; NumVgprs: 137
; ScratchSize: 0
; MemoryBound: 1
; FloatMode: 240
; IeeeMode: 1
; LDSByteSize: 0 bytes/workgroup (compile time only)
; SGPRBlocks: 5
; VGPRBlocks: 17
; NumSGPRsForWavesPerEU: 41
; NumVGPRsForWavesPerEU: 137
; Occupancy: 10
; WaveLimiterHint : 1
; COMPUTE_PGM_RSRC2:SCRATCH_EN: 0
; COMPUTE_PGM_RSRC2:USER_SGPR: 2
; COMPUTE_PGM_RSRC2:TRAP_HANDLER: 0
; COMPUTE_PGM_RSRC2:TGID_X_EN: 1
; COMPUTE_PGM_RSRC2:TGID_Y_EN: 0
; COMPUTE_PGM_RSRC2:TGID_Z_EN: 0
; COMPUTE_PGM_RSRC2:TIDIG_COMP_CNT: 0
	.text
	.p2alignl 7, 3214868480
	.fill 96, 4, 3214868480
	.type	__hip_cuid_6d75771405b9ae89,@object ; @__hip_cuid_6d75771405b9ae89
	.section	.bss,"aw",@nobits
	.globl	__hip_cuid_6d75771405b9ae89
__hip_cuid_6d75771405b9ae89:
	.byte	0                               ; 0x0
	.size	__hip_cuid_6d75771405b9ae89, 1

	.ident	"AMD clang version 19.0.0git (https://github.com/RadeonOpenCompute/llvm-project roc-6.4.0 25133 c7fe45cf4b819c5991fe208aaa96edf142730f1d)"
	.section	".note.GNU-stack","",@progbits
	.addrsig
	.addrsig_sym __hip_cuid_6d75771405b9ae89
	.amdgpu_metadata
---
amdhsa.kernels:
  - .args:
      - .actual_access:  read_only
        .address_space:  global
        .offset:         0
        .size:           8
        .value_kind:     global_buffer
      - .offset:         8
        .size:           8
        .value_kind:     by_value
      - .actual_access:  read_only
        .address_space:  global
        .offset:         16
        .size:           8
        .value_kind:     global_buffer
      - .actual_access:  read_only
        .address_space:  global
        .offset:         24
        .size:           8
        .value_kind:     global_buffer
      - .actual_access:  read_only
        .address_space:  global
        .offset:         32
        .size:           8
        .value_kind:     global_buffer
      - .offset:         40
        .size:           8
        .value_kind:     by_value
      - .actual_access:  read_only
        .address_space:  global
        .offset:         48
        .size:           8
        .value_kind:     global_buffer
      - .actual_access:  read_only
        .address_space:  global
        .offset:         56
        .size:           8
        .value_kind:     global_buffer
      - .offset:         64
        .size:           4
        .value_kind:     by_value
      - .actual_access:  read_only
        .address_space:  global
        .offset:         72
        .size:           8
        .value_kind:     global_buffer
      - .actual_access:  read_only
        .address_space:  global
        .offset:         80
        .size:           8
        .value_kind:     global_buffer
      - .actual_access:  read_only
        .address_space:  global
        .offset:         88
        .size:           8
        .value_kind:     global_buffer
      - .actual_access:  write_only
        .address_space:  global
        .offset:         96
        .size:           8
        .value_kind:     global_buffer
    .group_segment_fixed_size: 0
    .kernarg_segment_align: 8
    .kernarg_segment_size: 104
    .language:       OpenCL C
    .language_version:
      - 2
      - 0
    .max_flat_workgroup_size: 126
    .name:           fft_rtc_fwd_len1764_factors_2_2_3_3_7_7_wgs_126_tpt_126_halfLds_dp_op_CI_CI_unitstride_sbrr_dirReg
    .private_segment_fixed_size: 0
    .sgpr_count:     41
    .sgpr_spill_count: 0
    .symbol:         fft_rtc_fwd_len1764_factors_2_2_3_3_7_7_wgs_126_tpt_126_halfLds_dp_op_CI_CI_unitstride_sbrr_dirReg.kd
    .uniform_work_group_size: 1
    .uses_dynamic_stack: false
    .vgpr_count:     137
    .vgpr_spill_count: 0
    .wavefront_size: 32
    .workgroup_processor_mode: 1
amdhsa.target:   amdgcn-amd-amdhsa--gfx1201
amdhsa.version:
  - 1
  - 2
...

	.end_amdgpu_metadata
